;; amdgpu-corpus repo=ROCm/aiter kind=harvested arch=n/a opt=n/a

/root/src/amdgpu-assembly/repos/ROCm__aiter/hsa/gfx942/fmoe_int8_g1u1_smf_subGU_320.co:	file format elf64-amdgpu

Disassembly of section .text:

0000000000002b00 <fmoe_int8_g1u1_smf_subGU_320>:
	s_and_b32 s1, s1, 0xffff                                   // 000000002B00: 8601FF01 0000FFFF
	s_load_dwordx2 s[8:9], s[0:1], 0x0                         // 000000002B08: C0060200 00000000
	s_load_dwordx2 s[20:21], s[0:1], 0x10                      // 000000002B10: C0060500 00000010
	s_load_dwordx2 s[24:25], s[0:1], 0x20                      // 000000002B18: C0060600 00000020
	s_load_dwordx2 s[50:51], s[0:1], 0x30                      // 000000002B20: C0060C80 00000030
	s_load_dwordx2 s[12:13], s[0:1], 0x40                      // 000000002B28: C0060300 00000040
	s_load_dwordx2 s[28:29], s[0:1], 0x50                      // 000000002B30: C0060700 00000050
	s_load_dwordx2 s[32:33], s[0:1], 0x60                      // 000000002B38: C0060800 00000060
	s_load_dwordx2 s[16:17], s[0:1], 0x70                      // 000000002B40: C0060400 00000070
	s_load_dwordx2 s[36:37], s[0:1], 0x80                      // 000000002B48: C0060900 00000080
	s_load_dwordx2 s[44:45], s[0:1], 0x90                      // 000000002B50: C0060B00 00000090
	s_load_dwordx2 s[40:41], s[0:1], 0xa0                      // 000000002B58: C0060A00 000000A0
	s_load_dwordx2 s[46:47], s[0:1], 0xb0                      // 000000002B60: C0060B80 000000B0
	s_load_dword s64, s[0:1], 0xc0                             // 000000002B68: C0021000 000000C0
	s_load_dword s65, s[0:1], 0xd0                             // 000000002B70: C0021040 000000D0
	s_load_dword s66, s[0:1], 0xe0                             // 000000002B78: C0021080 000000E0
	s_load_dword s67, s[0:1], 0xf0                             // 000000002B80: C00210C0 000000F0
	s_load_dword s68, s[0:1], 0x100                            // 000000002B88: C0021100 00000100
	s_load_dword s69, s[0:1], 0x110                            // 000000002B90: C0021140 00000110
	s_load_dword s70, s[0:1], 0x120                            // 000000002B98: C0021180 00000120
	s_load_dword s71, s[0:1], 0x130                            // 000000002BA0: C00211C0 00000130
	s_load_dword s72, s[0:1], 0x140                            // 000000002BA8: C0021200 00000140
	s_load_dword s73, s[0:1], 0x150                            // 000000002BB0: C0021240 00000150
	s_load_dword s74, s[0:1], 0x160                            // 000000002BB8: C0021280 00000160
	s_load_dword s75, s[0:1], 0x170                            // 000000002BC0: C00212C0 00000170
	s_load_dword s76, s[0:1], 0x180                            // 000000002BC8: C0021300 00000180
	s_load_dword s63, s[0:1], 0x190                            // 000000002BD0: C0020FC0 00000190
	v_lshrrev_b32_e32 v1, 10, v0                               // 000000002BD8: 2002008A
	v_lshrrev_b32_e32 v2, 10, v1                               // 000000002BDC: 2004028A
	v_and_b32_e32 v2, 0x3ff, v2                                // 000000002BE0: 260404FF 000003FF
	v_and_b32_e32 v1, 0x3ff, v1                                // 000000002BE8: 260202FF 000003FF
	v_and_b32_e32 v0, 0x3ff, v0                                // 000000002BF0: 260000FF 000003FF
	v_lshrrev_b32_e32 v3, 6, v0                                // 000000002BF8: 20060086
	v_and_b32_e32 v0, 63, v0                                   // 000000002BFC: 260000BF
	s_mov_b32 s60, s2                                          // 000000002C00: BEBC0002
	s_mov_b32 s2, s3                                           // 000000002C04: BE820003
	s_mov_b32 s3, s60                                          // 000000002C08: BE83003C
	v_readfirstlane_b32 s5, v3                                 // 000000002C0C: 7E0A0503
	s_waitcnt lgkmcnt(0)                                       // 000000002C10: BF8CC07F
	s_and_b32 s51, s51, 0xffff                                 // 000000002C14: 8633FF33 0000FFFF
	s_load_dword s50, s[50:51], 0x0                            // 000000002C1C: C0020C99 00000000
	s_and_b32 s45, s45, 0xffff                                 // 000000002C24: 862DFF2D 0000FFFF
	s_and_b32 s47, s47, 0xffff                                 // 000000002C2C: 862FFF2F 0000FFFF
	s_and_b32 s9, s9, 0xffff                                   // 000000002C34: 8609FF09 0000FFFF
	s_mul_i32 s60, s66, s68                                    // 000000002C3C: 923C4442
	s_mov_b32 s22, s60                                         // 000000002C40: BE96003C
	s_mov_b32 s26, 0x80000000                                  // 000000002C44: BE9A00FF 80000000
	s_mov_b32 s14, 0x80000000                                  // 000000002C4C: BE8E00FF 80000000
	s_mov_b32 s42, 0x80000000                                  // 000000002C54: BEAA00FF 80000000
	s_mov_b32 s30, 0x80000000                                  // 000000002C5C: BE9E00FF 80000000
	s_mov_b32 s34, 0x500                                       // 000000002C64: BEA200FF 00000500
	s_mov_b32 s38, 0x500                                       // 000000002C6C: BEA600FF 00000500
	s_mov_b32 s18, 0x80000000                                  // 000000002C74: BE9200FF 80000000
	s_mov_b32 s23, 0x20000                                     // 000000002C7C: BE9700FF 00020000
	s_mov_b32 s27, 0x20000                                     // 000000002C84: BE9B00FF 00020000
	s_mov_b32 s15, 0x20000                                     // 000000002C8C: BE8F00FF 00020000
	s_mov_b32 s43, 0x20000                                     // 000000002C94: BEAB00FF 00020000
	s_mov_b32 s31, 0x20000                                     // 000000002C9C: BE9F00FF 00020000
	s_mov_b32 s35, 0x20000                                     // 000000002CA4: BEA300FF 00020000
	s_mov_b32 s39, 0x20000                                     // 000000002CAC: BEA700FF 00020000
	s_mov_b32 s19, 0x20000                                     // 000000002CB4: BE9300FF 00020000
	s_and_b32 s21, s21, 0xffff                                 // 000000002CBC: 8615FF15 0000FFFF
	s_and_b32 s25, s25, 0xffff                                 // 000000002CC4: 8619FF19 0000FFFF
	s_and_b32 s13, s13, 0xffff                                 // 000000002CCC: 860DFF0D 0000FFFF
	s_and_b32 s41, s41, 0xffff                                 // 000000002CD4: 8629FF29 0000FFFF
	s_and_b32 s29, s29, 0xffff                                 // 000000002CDC: 861DFF1D 0000FFFF
	s_and_b32 s33, s33, 0xffff                                 // 000000002CE4: 8621FF21 0000FFFF
	s_and_b32 s37, s37, 0xffff                                 // 000000002CEC: 8625FF25 0000FFFF
	s_and_b32 s17, s17, 0xffff                                 // 000000002CF4: 8611FF11 0000FFFF
	s_or_b32 s21, s21, 0x40000                                 // 000000002CFC: 8715FF15 00040000
	s_or_b32 s25, s25, 0x40000                                 // 000000002D04: 8719FF19 00040000
	s_or_b32 s13, s13, 0x40000                                 // 000000002D0C: 870DFF0D 00040000
	s_or_b32 s41, s41, 0x40000                                 // 000000002D14: 8729FF29 00040000
	s_or_b32 s29, s29, 0x40000                                 // 000000002D1C: 871DFF1D 00040000
	s_or_b32 s33, s33, 0x40000                                 // 000000002D24: 8721FF21 00040000
	s_or_b32 s37, s37, 0x40000                                 // 000000002D2C: 8725FF25 00040000
	s_or_b32 s17, s17, 0x40000                                 // 000000002D34: 8711FF11 00040000
	v_accvgpr_write_b32 a159, 0                                // 000000002D3C: D3D9409F 18000080
	v_mov_b32_e32 v231, 0                                      // 000000002D44: 7FCE0280
	s_waitcnt lgkmcnt(0)                                       // 000000002D48: BF8CC07F
	s_mul_i32 s60, s3, 32                                      // 000000002D4C: 923CA003
	s_cmp_lt_i32 s60, s50                                      // 000000002D50: BF04323C
	s_cbranch_scc0 label_2A14                                  // 000000002D54: BF84297E
	s_mov_b32 s80, 0                                           // 000000002D58: BED00080
	s_mov_b32 s81, s64                                         // 000000002D5C: BED10040
	s_mul_i32 s60, s3, 4                                       // 000000002D60: 923C8403
	s_add_u32 s46, s60, s46                                    // 000000002D64: 802E2E3C
	s_addc_u32 s47, 0, s47                                     // 000000002D68: 822F2F80
	s_load_dword s77, s[46:47], 0x0                            // 000000002D6C: C0021357 00000000
	s_mul_i32 s60, s3, 32                                      // 000000002D74: 923CA003
	s_add_u32 s60, s5, s60                                     // 000000002D78: 803C3C05
	s_mul_i32 s60, 4, s60                                      // 000000002D7C: 923C3C84
	s_add_u32 s44, s60, s44                                    // 000000002D80: 802C2C3C
	s_addc_u32 s45, 0, s45                                     // 000000002D84: 822D2D80
	s_load_dword s82, s[44:45], 0x0                            // 000000002D88: C0021496 00000000
	s_load_dword s83, s[44:45], 0x10                           // 000000002D90: C00214D6 00000010
	s_load_dword s84, s[44:45], 0x20                           // 000000002D98: C0021516 00000020
	s_load_dword s85, s[44:45], 0x30                           // 000000002DA0: C0021556 00000030
	s_load_dword s86, s[44:45], 0x40                           // 000000002DA8: C0021596 00000040
	s_load_dword s87, s[44:45], 0x50                           // 000000002DB0: C00215D6 00000050
	s_load_dword s88, s[44:45], 0x60                           // 000000002DB8: C0021616 00000060
	s_load_dword s89, s[44:45], 0x70                           // 000000002DC0: C0021656 00000070
	s_waitcnt lgkmcnt(0)                                       // 000000002DC8: BF8CC07F
	v_lshlrev_b32_e32 v42, 2, v0                               // 000000002DCC: 24540082
	s_and_b32 s82, s82, 0xffffff                               // 000000002DD0: 8652FF52 00FFFFFF
	s_mul_i32 s60, s82, s68                                    // 000000002DD8: 923C4452
	v_add_u32_e64 v28, v42, s60                                // 000000002DDC: D134001C 0000792A
	s_and_b32 s83, s83, 0xffffff                               // 000000002DE4: 8653FF53 00FFFFFF
	s_mul_i32 s60, s83, s68                                    // 000000002DEC: 923C4453
	v_add_u32_e64 v29, v42, s60                                // 000000002DF0: D134001D 0000792A
	s_and_b32 s84, s84, 0xffffff                               // 000000002DF8: 8654FF54 00FFFFFF
	s_mul_i32 s60, s84, s68                                    // 000000002E00: 923C4454
	v_add_u32_e64 v30, v42, s60                                // 000000002E04: D134001E 0000792A
	s_and_b32 s85, s85, 0xffffff                               // 000000002E0C: 8655FF55 00FFFFFF
	s_mul_i32 s60, s85, s68                                    // 000000002E14: 923C4455
	v_add_u32_e64 v31, v42, s60                                // 000000002E18: D134001F 0000792A
	s_and_b32 s86, s86, 0xffffff                               // 000000002E20: 8656FF56 00FFFFFF
	s_mul_i32 s60, s86, s68                                    // 000000002E28: 923C4456
	v_add_u32_e64 v32, v42, s60                                // 000000002E2C: D1340020 0000792A
	s_and_b32 s87, s87, 0xffffff                               // 000000002E34: 8657FF57 00FFFFFF
	s_mul_i32 s60, s87, s68                                    // 000000002E3C: 923C4457
	v_add_u32_e64 v33, v42, s60                                // 000000002E40: D1340021 0000792A
	s_and_b32 s88, s88, 0xffffff                               // 000000002E48: 8658FF58 00FFFFFF
	s_mul_i32 s60, s88, s68                                    // 000000002E50: 923C4458
	v_add_u32_e64 v34, v42, s60                                // 000000002E54: D1340022 0000792A
	s_and_b32 s89, s89, 0xffffff                               // 000000002E5C: 8659FF59 00FFFFFF
	s_mul_i32 s60, s89, s68                                    // 000000002E64: 923C4459
	v_add_u32_e64 v35, v42, s60                                // 000000002E68: D1340023 0000792A
	v_lshlrev_b32_e32 v42, 2, v0                               // 000000002E70: 24540082
	s_mul_i32 s60, s82, s71                                    // 000000002E74: 923C4752
	v_add_u32_e64 v80, v42, s60                                // 000000002E78: D1340050 0000792A
	v_mov_b32_e32 v81, 0                                       // 000000002E80: 7EA20280
	s_mul_i32 s60, s83, s71                                    // 000000002E84: 923C4753
	v_add_u32_e64 v82, v42, s60                                // 000000002E88: D1340052 0000792A
	v_mov_b32_e32 v83, 0                                       // 000000002E90: 7EA60280
	s_mul_i32 s60, s84, s71                                    // 000000002E94: 923C4754
	v_add_u32_e64 v84, v42, s60                                // 000000002E98: D1340054 0000792A
	v_mov_b32_e32 v85, 0                                       // 000000002EA0: 7EAA0280
	s_mul_i32 s60, s85, s71                                    // 000000002EA4: 923C4755
	v_add_u32_e64 v86, v42, s60                                // 000000002EA8: D1340056 0000792A
	v_mov_b32_e32 v87, 0                                       // 000000002EB0: 7EAE0280
	s_mul_i32 s60, s86, s71                                    // 000000002EB4: 923C4756
	v_add_u32_e64 v88, v42, s60                                // 000000002EB8: D1340058 0000792A
	v_mov_b32_e32 v89, 0                                       // 000000002EC0: 7EB20280
	s_mul_i32 s60, s87, s71                                    // 000000002EC4: 923C4757
	v_add_u32_e64 v90, v42, s60                                // 000000002EC8: D134005A 0000792A
	v_mov_b32_e32 v91, 0                                       // 000000002ED0: 7EB60280
	s_mul_i32 s60, s88, s71                                    // 000000002ED4: 923C4758
	v_add_u32_e64 v92, v42, s60                                // 000000002ED8: D134005C 0000792A
	v_mov_b32_e32 v93, 0                                       // 000000002EE0: 7EBA0280
	s_mul_i32 s60, s89, s71                                    // 000000002EE4: 923C4759
	v_add_u32_e64 v94, v42, s60                                // 000000002EE8: D134005E 0000792A
	v_mov_b32_e32 v95, 0                                       // 000000002EF0: 7EBE0280
	s_mul_i32 s60, s5, 0x208                                   // 000000002EF4: 923CFF05 00000208
	s_add_u32 s50, 0x800, s60                                  // 000000002EFC: 80323CFF 00000800
	s_add_u32 s51, 0x4100, s50                                 // 000000002F04: 803332FF 00004100
	v_lshrrev_b32_e32 v42, 4, v0                               // 000000002F0C: 20540084
	v_lshlrev_b32_e32 v43, 1, v42                              // 000000002F10: 24565481
	v_and_b32_e32 v42, 15, v0                                  // 000000002F14: 2654008F
	v_mul_i32_i24_e32 v42, 0x82, v42                           // 000000002F18: 0C5454FF 00000082
	v_add_u32_e32 v43, v42, v43                                // 000000002F20: 6856572A
	v_lshlrev_b32_e32 v2, 2, v43                               // 000000002F24: 24045682
	s_mul_i32 s60, s5, 32                                      // 000000002F28: 923CA005
	v_add_u32_e32 v2, s60, v2                                  // 000000002F2C: 6804043C
	v_lshlrev_b32_e32 v42, 3, v0                               // 000000002F30: 24540083
	s_mul_i32 s60, 0x200, s5                                   // 000000002F34: 923C05FF 00000200
	v_add_u32_e32 v3, s60, v42                                 // 000000002F3C: 6806543C
	v_and_b32_e32 v42, 15, v0                                  // 000000002F40: 2654008F
	v_lshlrev_b32_e32 v4, 3, v42                               // 000000002F44: 24085483
	v_lshrrev_b32_e32 v42, 5, v0                               // 000000002F48: 20540085
	v_lshlrev_b32_e32 v43, 5, v42                              // 000000002F4C: 24565485
	v_and_b32_e32 v42, 31, v0                                  // 000000002F50: 2654009F
	v_lshrrev_b32_e32 v44, 4, v42                              // 000000002F54: 20585484
	v_add_u32_e32 v43, v44, v43                                // 000000002F58: 6856572C
	v_and_b32_e32 v42, 15, v0                                  // 000000002F5C: 2654008F
	v_lshlrev_b32_e32 v42, 1, v42                              // 000000002F60: 24545481
	v_add_u32_e32 v43, v42, v43                                // 000000002F64: 6856572A
	v_lshlrev_b32_e32 v42, 2, v43                              // 000000002F68: 24545682
	s_mul_i32 s60, 0x100, s5                                   // 000000002F6C: 923C05FF 00000100
	v_add_u32_e64 v12, v42, s60                                // 000000002F74: D134000C 0000792A
	v_lshrrev_b32_e32 v42, 4, v0                               // 000000002F7C: 20540084
	v_lshlrev_b32_e32 v43, 6, v42                              // 000000002F80: 24565486
	v_and_b32_e32 v42, 15, v0                                  // 000000002F84: 2654008F
	v_lshlrev_b32_e32 v42, 1, v42                              // 000000002F88: 24545481
	v_add_u32_e32 v43, v42, v43                                // 000000002F8C: 6856572A
	v_lshlrev_b32_e32 v13, 2, v43                              // 000000002F90: 241A5682
	s_mul_i32 s60, s2, 0x140                                   // 000000002F94: 923CFF02 00000140
	s_mul_i32 s60, s60, s69                                    // 000000002F9C: 923C453C
	s_mul_i32 s61, s77, s72                                    // 000000002FA0: 923D484D
	s_add_u32 s60, s61, s60                                    // 000000002FA4: 803C3C3D
	s_add_u32 s24, s60, s24                                    // 000000002FA8: 8018183C
	s_addc_u32 s25, 0, s25                                     // 000000002FAC: 82191980
	s_mul_i32 s60, s5, 16                                      // 000000002FB0: 923C9005
	s_mul_i32 s60, s60, s69                                    // 000000002FB4: 923C453C
	v_lshlrev_b32_e32 v36, 4, v0                               // 000000002FB8: 24480084
	v_add_u32_e32 v36, s60, v36                                // 000000002FBC: 6848483C
	s_mul_i32 s60, 64, s69                                     // 000000002FC0: 923C45C0
	v_add_u32_e32 v37, s60, v36                                // 000000002FC4: 684A483C
	v_add_u32_e32 v38, s60, v37                                // 000000002FC8: 684C4A3C
	v_add_u32_e32 v39, s60, v38                                // 000000002FCC: 684E4C3C
	v_add_u32_e32 v40, s60, v39                                // 000000002FD0: 68504E3C
	s_mov_b32 s92, s24                                         // 000000002FD4: BEDC0018
	s_mov_b32 s93, s25                                         // 000000002FD8: BEDD0019
	s_mov_b32 s94, s26                                         // 000000002FDC: BEDE001A
	s_mov_b32 s95, s27                                         // 000000002FE0: BEDF001B
	s_mul_i32 s60, s69, s65                                    // 000000002FE4: 923C4145
	s_add_u32 s92, s60, s92                                    // 000000002FE8: 805C5C3C
	s_addc_u32 s93, 0, s93                                     // 000000002FEC: 825D5D80
	s_mul_i32 s60, s2, 0x1400                                  // 000000002FF0: 923CFF02 00001400
	s_mul_i32 s61, s77, s73                                    // 000000002FF8: 923D494D
	s_add_u32 s60, s61, s60                                    // 000000002FFC: 803C3C3D
	s_add_u32 s12, s60, s12                                    // 000000003000: 800C0C3C
	s_addc_u32 s13, 0, s13                                     // 000000003004: 820D0D80
	s_mul_i32 s60, s70, 0x100                                  // 000000003008: 923CFF46 00000100
	s_mov_b32 s78, 0x400                                       // 000000003010: BECE00FF 00000400
	s_mul_i32 s61, s78, 4                                      // 000000003018: 923D844E
	s_sub_u32 s56, s60, s61                                    // 00000000301C: 80B83D3C
	s_mul_i32 s60, s3, 32                                      // 000000003020: 923CA003
	s_mul_i32 s60, 4, s60                                      // 000000003024: 923C3C84
	s_add_u32 s40, s60, s40                                    // 000000003028: 8028283C
	s_addc_u32 s41, 0, s41                                     // 00000000302C: 82292980
	v_and_b32_e32 v42, 15, v0                                  // 000000003030: 2654008F
	v_lshlrev_b32_e32 v8, 2, v42                               // 000000003034: 24105482
	v_add_u32_e32 v9, 64, v8                                   // 000000003038: 681210C0
	v_lshrrev_b32_e32 v42, 4, v0                               // 00000000303C: 20540084
	v_lshlrev_b32_e32 v43, 2, v42                              // 000000003040: 24565482
	v_and_b32_e32 v42, 15, v0                                  // 000000003044: 2654008F
	v_lshrrev_b32_e32 v44, 2, v42                              // 000000003048: 20585482
	v_lshlrev_b32_e32 v44, 6, v44                              // 00000000304C: 24585886
	v_add_u32_e32 v43, v44, v43                                // 000000003050: 6856572C
	v_and_b32_e32 v42, 3, v0                                   // 000000003054: 26540083
	v_add_u32_e32 v43, v42, v43                                // 000000003058: 6856572A
	v_lshlrev_b32_e32 v10, 2, v43                              // 00000000305C: 24145682
	v_add_u32_e32 v11, 0x400, v10                              // 000000003060: 681614FF 00000400
	s_mul_i32 s60, s5, 16                                      // 000000003068: 923C9005
	s_mul_i32 s60, s60, 4                                      // 00000000306C: 923C843C
	v_add_u32_e32 v10, s60, v10                                // 000000003070: 6814143C
	v_add_u32_e32 v11, s60, v11                                // 000000003074: 6816163C
	v_mov_b32_e32 v5, v10                                      // 000000003078: 7E0A030A
	v_mov_b32_e32 v6, v10                                      // 00000000307C: 7E0C030A
	s_mul_i32 s60, s2, 0x140                                   // 000000003080: 923CFF02 00000140
	s_mul_i32 s60, s60, 4                                      // 000000003088: 923C843C
	s_mul_i32 s61, s77, s74                                    // 00000000308C: 923D4A4D
	s_add_u32 s61, s61, s60                                    // 000000003090: 803D3C3D
	s_mul_i32 s62, s77, s76                                    // 000000003094: 923E4C4D
	s_add_u32 s62, s62, s60                                    // 000000003098: 803E3C3E
	s_add_u32 s32, s61, s32                                    // 00000000309C: 8020203D
	s_addc_u32 s33, 0, s33                                     // 0000000030A0: 82212180
	s_add_u32 s36, s62, s36                                    // 0000000030A4: 8024243E
	s_addc_u32 s37, 0, s37                                     // 0000000030A8: 82252580
	s_mul_i32 s60, s77, s75                                    // 0000000030AC: 923C4B4D
	s_add_u32 s16, s60, s16                                    // 0000000030B0: 8010103C
	s_addc_u32 s17, 0, s17                                     // 0000000030B4: 82111180
	s_add_u32 s28, s60, s28                                    // 0000000030B8: 801C1C3C
	s_addc_u32 s29, 0, s29                                     // 0000000030BC: 821D1D80
	s_mov_b32 s57, 0x200                                       // 0000000030C0: BEB900FF 00000200
	s_mov_b32 s58, 0x1000                                      // 0000000030C8: BEBA00FF 00001000
	s_mov_b32 s79, 0x400                                       // 0000000030D0: BECF00FF 00000400
	s_mov_b32 s91, 0x400                                       // 0000000030D8: BEDB00FF 00000400
	s_mov_b32 s59, 0                                           // 0000000030E0: BEBB0080
	s_mov_b32 s90, s58                                         // 0000000030E4: BEDA003A
	s_mov_b32 s52, 0x7060302                                   // 0000000030E8: BEB400FF 07060302
	s_mov_b32 s53, 0x400                                       // 0000000030F0: BEB500FF 00000400
	s_mov_b32 s54, 0x40100                                     // 0000000030F8: BEB600FF 00040100
	s_mov_b32 s55, 0x4020100                                   // 000000003100: BEB700FF 04020100
	s_mov_b32 s6, 0x3fb8aa3b                                   // 000000003108: BE8600FF 3FB8AA3B
	s_mov_b32 s7, 0x3fb8aa3b                                   // 000000003110: BE8700FF 3FB8AA3B
	s_mov_b32 s3, 0xbd92220c                                   // 000000003118: BE8300FF BD92220C
	s_mov_b32 s4, 0xbd92220c                                   // 000000003120: BE8400FF BD92220C
	s_mov_b32 m0, s50                                          // 000000003128: BEFC0032
	v_mov_b32_e32 v54, 0xbfcc4231                              // 00000000312C: 7E6C02FF BFCC4231
	v_mov_b32_e32 v55, 0xbfcc4231                              // 000000003134: 7E6E02FF BFCC4231
	v_mov_b32_e32 v51, 0xffff0000                              // 00000000313C: 7E6602FF FFFF0000
	v_mov_b32_e32 v52, 0x7fff0000                              // 000000003144: 7E6802FF 7FFF0000
	v_mov_b32_e32 v53, 0x7fff                                  // 00000000314C: 7E6A02FF 00007FFF
	buffer_load_dword v20, v8, s[40:43], 0 offen               // 000000003154: E0501000 800A1408
	buffer_load_dword v21, v9, s[40:43], 0 offen               // 00000000315C: E0501000 800A1509
	buffer_load_dword v16, v10, s[32:35], 0 offen              // 000000003164: E0501000 8008100A
	buffer_load_dword v17, v11, s[32:35], 0 offen              // 00000000316C: E0501000 8008110B
	s_mul_i32 s60, 4, s65                                      // 000000003174: 923C4184
	s_add_u32 s32, s60, s32                                    // 000000003178: 8020203C
	s_addc_u32 s33, 0, s33                                     // 00000000317C: 82212180
	buffer_load_dword v8, v10, s[32:35], 0 offen               // 000000003180: E0501000 8008080A
	buffer_load_dword v9, v11, s[32:35], 0 offen               // 000000003188: E0501000 8008090B
	buffer_load_dword v18, v10, s[36:39], 0 offen              // 000000003190: E0501000 8009120A
	buffer_load_dword v19, v11, s[36:39], 0 offen              // 000000003198: E0501000 8009130B
	buffer_load_dword v14, v6, s[28:31], 0 offen               // 0000000031A0: E0501000 80070E06
	s_add_u32 s28, s91, s28                                    // 0000000031A8: 801C1C5B
	s_addc_u32 s29, 0, s29                                     // 0000000031AC: 821D1D80
	buffer_load_dword v28, s[20:23], 0 offen lds               // 0000000031B0: E0511000 8005001C
	buffer_load_dword v28, s[20:23], 0 offen offset:256 lds    // 0000000031B8: E0511100 8005001C
	s_add_u32 m0, 0x820, s50                                   // 0000000031C0: 807C32FF 00000820
	buffer_load_dword v29, s[20:23], 0 offen lds               // 0000000031C8: E0511000 8005001D
	buffer_load_dword v29, s[20:23], 0 offen offset:256 lds    // 0000000031D0: E0511100 8005001D
	s_add_u32 m0, 0x1040, s50                                  // 0000000031D8: 807C32FF 00001040
	buffer_load_dword v30, s[20:23], 0 offen lds               // 0000000031E0: E0511000 8005001E
	buffer_load_dword v30, s[20:23], 0 offen offset:256 lds    // 0000000031E8: E0511100 8005001E
	s_add_u32 m0, 0x1860, s50                                  // 0000000031F0: 807C32FF 00001860
	buffer_load_dword v31, s[20:23], 0 offen lds               // 0000000031F8: E0511000 8005001F
	buffer_load_dword v31, s[20:23], 0 offen offset:256 lds    // 000000003200: E0511100 8005001F
	s_add_u32 m0, 0x2080, s50                                  // 000000003208: 807C32FF 00002080
	buffer_load_dword v32, s[20:23], 0 offen lds               // 000000003210: E0511000 80050020
	buffer_load_dword v32, s[20:23], 0 offen offset:256 lds    // 000000003218: E0511100 80050020
	s_add_u32 m0, 0x28a0, s50                                  // 000000003220: 807C32FF 000028A0
	buffer_load_dword v33, s[20:23], 0 offen lds               // 000000003228: E0511000 80050021
	buffer_load_dword v33, s[20:23], 0 offen offset:256 lds    // 000000003230: E0511100 80050021
	s_add_u32 m0, 0x30c0, s50                                  // 000000003238: 807C32FF 000030C0
	buffer_load_dword v34, s[20:23], 0 offen lds               // 000000003240: E0511000 80050022
	buffer_load_dword v34, s[20:23], 0 offen offset:256 lds    // 000000003248: E0511100 80050022
	s_add_u32 m0, 0x38e0, s50                                  // 000000003250: 807C32FF 000038E0
	buffer_load_dword v35, s[20:23], 0 offen lds               // 000000003258: E0511000 80050023
	buffer_load_dword v35, s[20:23], 0 offen offset:256 lds    // 000000003260: E0511100 80050023
	s_add_u32 m0, 0, s51                                       // 000000003268: 807C3380
	s_add_u32 s20, s57, s20                                    // 00000000326C: 80141439
	s_addc_u32 s21, 0, s21                                     // 000000003270: 82151580
	buffer_load_dwordx4 a[0:3], v36, s[24:27], 0 offen         // 000000003274: E05C1000 80860024
	buffer_load_dwordx4 a[4:7], v36, s[24:27], 0 offen offset:1024// 00000000327C: E05C1400 80860424
	buffer_load_dwordx4 a[8:11], v36, s[24:27], 0 offen offset:2048// 000000003284: E05C1800 80860824
	buffer_load_dwordx4 a[12:15], v36, s[24:27], 0 offen offset:3072// 00000000328C: E05C1C00 80860C24
	buffer_load_dwordx4 a[16:19], v37, s[24:27], 0 offen       // 000000003294: E05C1000 80861025
	buffer_load_dwordx4 a[20:23], v37, s[24:27], 0 offen offset:1024// 00000000329C: E05C1400 80861425
	buffer_load_dwordx4 a[24:27], v37, s[24:27], 0 offen offset:2048// 0000000032A4: E05C1800 80861825
	buffer_load_dwordx4 a[28:31], v37, s[24:27], 0 offen offset:3072// 0000000032AC: E05C1C00 80861C25
	buffer_load_dwordx4 a[32:35], v38, s[24:27], 0 offen       // 0000000032B4: E05C1000 80862026
	buffer_load_dwordx4 a[36:39], v38, s[24:27], 0 offen offset:1024// 0000000032BC: E05C1400 80862426
	buffer_load_dwordx4 a[40:43], v38, s[24:27], 0 offen offset:2048// 0000000032C4: E05C1800 80862826
	buffer_load_dwordx4 a[44:47], v38, s[24:27], 0 offen offset:3072// 0000000032CC: E05C1C00 80862C26
	buffer_load_dwordx4 a[48:51], v39, s[24:27], 0 offen       // 0000000032D4: E05C1000 80863027
	buffer_load_dwordx4 a[52:55], v39, s[24:27], 0 offen offset:1024// 0000000032DC: E05C1400 80863427
	buffer_load_dwordx4 a[56:59], v39, s[24:27], 0 offen offset:2048// 0000000032E4: E05C1800 80863827
	buffer_load_dwordx4 a[60:63], v39, s[24:27], 0 offen offset:3072// 0000000032EC: E05C1C00 80863C27
	buffer_load_dwordx4 a[64:67], v40, s[24:27], 0 offen       // 0000000032F4: E05C1000 80864028
	buffer_load_dwordx4 a[68:71], v40, s[24:27], 0 offen offset:1024// 0000000032FC: E05C1400 80864428
	buffer_load_dwordx4 a[72:75], v40, s[24:27], 0 offen offset:2048// 000000003304: E05C1800 80864828
	buffer_load_dwordx4 a[76:79], v40, s[24:27], 0 offen offset:3072// 00000000330C: E05C1C00 80864C28
	s_add_u32 s24, s58, s24                                    // 000000003314: 8018183A
	s_addc_u32 s25, 0, s25                                     // 000000003318: 82191980
	v_mov_b32_e32 v128, 0                                      // 00000000331C: 7F000280
	v_mov_b32_e32 v64, 0                                       // 000000003320: 7E800280
	v_mov_b32_e32 v129, 0                                      // 000000003324: 7F020280
	v_mov_b32_e32 v65, 0                                       // 000000003328: 7E820280
	v_mov_b32_e32 v130, 0                                      // 00000000332C: 7F040280
	v_mov_b32_e32 v66, 0                                       // 000000003330: 7E840280
	v_mov_b32_e32 v131, 0                                      // 000000003334: 7F060280
	v_mov_b32_e32 v67, 0                                       // 000000003338: 7E860280
	v_mov_b32_e32 v132, 0                                      // 00000000333C: 7F080280
	v_mov_b32_e32 v68, 0                                       // 000000003340: 7E880280
	v_mov_b32_e32 v133, 0                                      // 000000003344: 7F0A0280
	v_mov_b32_e32 v69, 0                                       // 000000003348: 7E8A0280
	v_mov_b32_e32 v134, 0                                      // 00000000334C: 7F0C0280
	v_mov_b32_e32 v70, 0                                       // 000000003350: 7E8C0280
	v_mov_b32_e32 v135, 0                                      // 000000003354: 7F0E0280
	v_mov_b32_e32 v71, 0                                       // 000000003358: 7E8E0280
	v_mov_b32_e32 v136, 0                                      // 00000000335C: 7F100280
	v_mov_b32_e32 v72, 0                                       // 000000003360: 7E900280
	v_mov_b32_e32 v137, 0                                      // 000000003364: 7F120280
	v_mov_b32_e32 v73, 0                                       // 000000003368: 7E920280
	v_mov_b32_e32 v138, 0                                      // 00000000336C: 7F140280
	v_mov_b32_e32 v74, 0                                       // 000000003370: 7E940280
	v_mov_b32_e32 v139, 0                                      // 000000003374: 7F160280
	v_mov_b32_e32 v75, 0                                       // 000000003378: 7E960280
	v_mov_b32_e32 v140, 0                                      // 00000000337C: 7F180280
	v_mov_b32_e32 v76, 0                                       // 000000003380: 7E980280
	v_mov_b32_e32 v141, 0                                      // 000000003384: 7F1A0280
	v_mov_b32_e32 v77, 0                                       // 000000003388: 7E9A0280
	v_mov_b32_e32 v142, 0                                      // 00000000338C: 7F1C0280
	v_mov_b32_e32 v78, 0                                       // 000000003390: 7E9C0280
	v_mov_b32_e32 v143, 0                                      // 000000003394: 7F1E0280
	v_mov_b32_e32 v79, 0                                       // 000000003398: 7E9E0280
	v_mov_b32_e32 v144, 0                                      // 00000000339C: 7F200280
	v_mov_b32_e32 v80, 0                                       // 0000000033A0: 7EA00280
	v_mov_b32_e32 v145, 0                                      // 0000000033A4: 7F220280
	v_mov_b32_e32 v81, 0                                       // 0000000033A8: 7EA20280
	v_mov_b32_e32 v146, 0                                      // 0000000033AC: 7F240280
	v_mov_b32_e32 v82, 0                                       // 0000000033B0: 7EA40280
	v_mov_b32_e32 v147, 0                                      // 0000000033B4: 7F260280
	v_mov_b32_e32 v83, 0                                       // 0000000033B8: 7EA60280
	v_mov_b32_e32 v148, 0                                      // 0000000033BC: 7F280280
	v_mov_b32_e32 v84, 0                                       // 0000000033C0: 7EA80280
	v_mov_b32_e32 v149, 0                                      // 0000000033C4: 7F2A0280
	v_mov_b32_e32 v85, 0                                       // 0000000033C8: 7EAA0280
	v_mov_b32_e32 v150, 0                                      // 0000000033CC: 7F2C0280
	v_mov_b32_e32 v86, 0                                       // 0000000033D0: 7EAC0280
	v_mov_b32_e32 v151, 0                                      // 0000000033D4: 7F2E0280
	v_mov_b32_e32 v87, 0                                       // 0000000033D8: 7EAE0280
	v_mov_b32_e32 v152, 0                                      // 0000000033DC: 7F300280
	v_mov_b32_e32 v88, 0                                       // 0000000033E0: 7EB00280
	v_mov_b32_e32 v153, 0                                      // 0000000033E4: 7F320280
	v_mov_b32_e32 v89, 0                                       // 0000000033E8: 7EB20280
	v_mov_b32_e32 v154, 0                                      // 0000000033EC: 7F340280
	v_mov_b32_e32 v90, 0                                       // 0000000033F0: 7EB40280
	v_mov_b32_e32 v155, 0                                      // 0000000033F4: 7F360280
	v_mov_b32_e32 v91, 0                                       // 0000000033F8: 7EB60280
	v_mov_b32_e32 v156, 0                                      // 0000000033FC: 7F380280
	v_mov_b32_e32 v92, 0                                       // 000000003400: 7EB80280
	v_mov_b32_e32 v157, 0                                      // 000000003404: 7F3A0280
	v_mov_b32_e32 v93, 0                                       // 000000003408: 7EBA0280
	v_mov_b32_e32 v158, 0                                      // 00000000340C: 7F3C0280
	v_mov_b32_e32 v94, 0                                       // 000000003410: 7EBC0280
	v_mov_b32_e32 v159, 0                                      // 000000003414: 7F3E0280
	v_mov_b32_e32 v95, 0                                       // 000000003418: 7EBE0280
	v_mov_b32_e32 v160, 0                                      // 00000000341C: 7F400280
	v_mov_b32_e32 v96, 0                                       // 000000003420: 7EC00280
	v_mov_b32_e32 v161, 0                                      // 000000003424: 7F420280
	v_mov_b32_e32 v97, 0                                       // 000000003428: 7EC20280
	v_mov_b32_e32 v162, 0                                      // 00000000342C: 7F440280
	v_mov_b32_e32 v98, 0                                       // 000000003430: 7EC40280
	v_mov_b32_e32 v163, 0                                      // 000000003434: 7F460280
	v_mov_b32_e32 v99, 0                                       // 000000003438: 7EC60280
	v_mov_b32_e32 v164, 0                                      // 00000000343C: 7F480280
	v_mov_b32_e32 v100, 0                                      // 000000003440: 7EC80280
	v_mov_b32_e32 v165, 0                                      // 000000003444: 7F4A0280
	v_mov_b32_e32 v101, 0                                      // 000000003448: 7ECA0280
	v_mov_b32_e32 v166, 0                                      // 00000000344C: 7F4C0280
	v_mov_b32_e32 v102, 0                                      // 000000003450: 7ECC0280
	v_mov_b32_e32 v167, 0                                      // 000000003454: 7F4E0280
	v_mov_b32_e32 v103, 0                                      // 000000003458: 7ECE0280
	s_waitcnt vmcnt(20)                                        // 00000000345C: BF8C4F74
	s_barrier                                                  // 000000003460: BF8A0000
	ds_read_b64 v[168:169], v2 offset:2048                     // 000000003464: D8EC0800 A8000002
	ds_read_b64 v[172:173], v2 offset:10368                    // 00000000346C: D8EC2880 AC000002
	ds_read_b64 v[176:177], v2 offset:2176                     // 000000003474: D8EC0880 B0000002
	ds_read_b64 v[180:181], v2 offset:10496                    // 00000000347C: D8EC2900 B4000002
	ds_read_b64 v[184:185], v2 offset:2304                     // 000000003484: D8EC0900 B8000002
	ds_read_b64 v[188:189], v2 offset:10624                    // 00000000348C: D8EC2980 BC000002
	ds_read_b64 v[192:193], v2 offset:2432                     // 000000003494: D8EC0980 C0000002
	ds_read_b64 v[196:197], v2 offset:10752                    // 00000000349C: D8EC2A00 C4000002
	s_waitcnt lgkmcnt(0)                                       // 0000000034A4: BF8CC07F
	v_and_b32_e32 v171, 0xffff0000, v169                       // 0000000034A8: 275752FF FFFF0000
	v_lshlrev_b32_e32 v170, 16, v169                           // 0000000034B0: 25555290
	v_and_b32_e32 v169, 0xffff0000, v168                       // 0000000034B4: 275350FF FFFF0000
	v_lshlrev_b32_e32 v168, 16, v168                           // 0000000034BC: 25515090
	v_and_b32_e32 v175, 0xffff0000, v173                       // 0000000034C0: 275F5AFF FFFF0000
	v_lshlrev_b32_e32 v174, 16, v173                           // 0000000034C8: 255D5A90
	v_and_b32_e32 v173, 0xffff0000, v172                       // 0000000034CC: 275B58FF FFFF0000
	v_lshlrev_b32_e32 v172, 16, v172                           // 0000000034D4: 25595890
	v_and_b32_e32 v179, 0xffff0000, v177                       // 0000000034D8: 276762FF FFFF0000
	v_lshlrev_b32_e32 v178, 16, v177                           // 0000000034E0: 25656290
	v_and_b32_e32 v177, 0xffff0000, v176                       // 0000000034E4: 276360FF FFFF0000
	v_lshlrev_b32_e32 v176, 16, v176                           // 0000000034EC: 25616090
	v_and_b32_e32 v183, 0xffff0000, v181                       // 0000000034F0: 276F6AFF FFFF0000
	v_lshlrev_b32_e32 v182, 16, v181                           // 0000000034F8: 256D6A90
	v_and_b32_e32 v181, 0xffff0000, v180                       // 0000000034FC: 276B68FF FFFF0000
	v_lshlrev_b32_e32 v180, 16, v180                           // 000000003504: 25696890
	v_and_b32_e32 v187, 0xffff0000, v185                       // 000000003508: 277772FF FFFF0000
	v_lshlrev_b32_e32 v186, 16, v185                           // 000000003510: 25757290
	v_and_b32_e32 v185, 0xffff0000, v184                       // 000000003514: 277370FF FFFF0000
	v_lshlrev_b32_e32 v184, 16, v184                           // 00000000351C: 25717090
	v_and_b32_e32 v191, 0xffff0000, v189                       // 000000003520: 277F7AFF FFFF0000
	v_lshlrev_b32_e32 v190, 16, v189                           // 000000003528: 257D7A90
	v_and_b32_e32 v189, 0xffff0000, v188                       // 00000000352C: 277B78FF FFFF0000
	v_lshlrev_b32_e32 v188, 16, v188                           // 000000003534: 25797890
	v_and_b32_e32 v195, 0xffff0000, v193                       // 000000003538: 278782FF FFFF0000
	v_lshlrev_b32_e32 v194, 16, v193                           // 000000003540: 25858290
	v_and_b32_e32 v193, 0xffff0000, v192                       // 000000003544: 278380FF FFFF0000
	v_lshlrev_b32_e32 v192, 16, v192                           // 00000000354C: 25818090
	v_and_b32_e32 v199, 0xffff0000, v197                       // 000000003550: 278F8AFF FFFF0000
	v_lshlrev_b32_e32 v198, 16, v197                           // 000000003558: 258D8A90
	v_and_b32_e32 v197, 0xffff0000, v196                       // 00000000355C: 278B88FF FFFF0000
	v_lshlrev_b32_e32 v196, 16, v196                           // 000000003564: 25898890
	v_mul_f32_dpp v168, v14, v168 row_newbcast:0 row_mask:0xf bank_mask:0xf// 000000003568: 0B5150FA FF01500E
	v_mul_f32_dpp v169, v14, v169 row_newbcast:1 row_mask:0xf bank_mask:0xf// 000000003570: 0B5352FA FF01510E
	v_mul_f32_dpp v170, v14, v170 row_newbcast:2 row_mask:0xf bank_mask:0xf// 000000003578: 0B5554FA FF01520E
	v_mul_f32_dpp v171, v14, v171 row_newbcast:3 row_mask:0xf bank_mask:0xf// 000000003580: 0B5756FA FF01530E
	v_mul_f32_dpp v172, v14, v172 row_newbcast:0 row_mask:0xf bank_mask:0xf// 000000003588: 0B5958FA FF01500E
	v_mul_f32_dpp v173, v14, v173 row_newbcast:1 row_mask:0xf bank_mask:0xf// 000000003590: 0B5B5AFA FF01510E
	v_mul_f32_dpp v174, v14, v174 row_newbcast:2 row_mask:0xf bank_mask:0xf// 000000003598: 0B5D5CFA FF01520E
	v_mul_f32_dpp v175, v14, v175 row_newbcast:3 row_mask:0xf bank_mask:0xf// 0000000035A0: 0B5F5EFA FF01530E
	v_mul_f32_dpp v176, v14, v176 row_newbcast:4 row_mask:0xf bank_mask:0xf// 0000000035A8: 0B6160FA FF01540E
	v_mul_f32_dpp v177, v14, v177 row_newbcast:5 row_mask:0xf bank_mask:0xf// 0000000035B0: 0B6362FA FF01550E
	v_mul_f32_dpp v178, v14, v178 row_newbcast:6 row_mask:0xf bank_mask:0xf// 0000000035B8: 0B6564FA FF01560E
	v_mul_f32_dpp v179, v14, v179 row_newbcast:7 row_mask:0xf bank_mask:0xf// 0000000035C0: 0B6766FA FF01570E
	v_mul_f32_dpp v180, v14, v180 row_newbcast:4 row_mask:0xf bank_mask:0xf// 0000000035C8: 0B6968FA FF01540E
	v_mul_f32_dpp v181, v14, v181 row_newbcast:5 row_mask:0xf bank_mask:0xf// 0000000035D0: 0B6B6AFA FF01550E
	v_mul_f32_dpp v182, v14, v182 row_newbcast:6 row_mask:0xf bank_mask:0xf// 0000000035D8: 0B6D6CFA FF01560E
	v_mul_f32_dpp v183, v14, v183 row_newbcast:7 row_mask:0xf bank_mask:0xf// 0000000035E0: 0B6F6EFA FF01570E
	v_mul_f32_dpp v184, v14, v184 row_newbcast:8 row_mask:0xf bank_mask:0xf// 0000000035E8: 0B7170FA FF01580E
	v_mul_f32_dpp v185, v14, v185 row_newbcast:9 row_mask:0xf bank_mask:0xf// 0000000035F0: 0B7372FA FF01590E
	v_mul_f32_dpp v186, v14, v186 row_newbcast:10 row_mask:0xf bank_mask:0xf// 0000000035F8: 0B7574FA FF015A0E
	v_mul_f32_dpp v187, v14, v187 row_newbcast:11 row_mask:0xf bank_mask:0xf// 000000003600: 0B7776FA FF015B0E
	v_mul_f32_dpp v188, v14, v188 row_newbcast:8 row_mask:0xf bank_mask:0xf// 000000003608: 0B7978FA FF01580E
	v_mul_f32_dpp v189, v14, v189 row_newbcast:9 row_mask:0xf bank_mask:0xf// 000000003610: 0B7B7AFA FF01590E
	v_mul_f32_dpp v190, v14, v190 row_newbcast:10 row_mask:0xf bank_mask:0xf// 000000003618: 0B7D7CFA FF015A0E
	v_mul_f32_dpp v191, v14, v191 row_newbcast:11 row_mask:0xf bank_mask:0xf// 000000003620: 0B7F7EFA FF015B0E
	v_mul_f32_dpp v192, v14, v192 row_newbcast:12 row_mask:0xf bank_mask:0xf// 000000003628: 0B8180FA FF015C0E
	v_mul_f32_dpp v193, v14, v193 row_newbcast:13 row_mask:0xf bank_mask:0xf// 000000003630: 0B8382FA FF015D0E
	v_mul_f32_dpp v194, v14, v194 row_newbcast:14 row_mask:0xf bank_mask:0xf// 000000003638: 0B8584FA FF015E0E
	v_mul_f32_dpp v195, v14, v195 row_newbcast:15 row_mask:0xf bank_mask:0xf// 000000003640: 0B8786FA FF015F0E
	v_mul_f32_dpp v196, v14, v196 row_newbcast:12 row_mask:0xf bank_mask:0xf// 000000003648: 0B8988FA FF015C0E
	v_mul_f32_dpp v197, v14, v197 row_newbcast:13 row_mask:0xf bank_mask:0xf// 000000003650: 0B8B8AFA FF015D0E
	v_mul_f32_dpp v198, v14, v198 row_newbcast:14 row_mask:0xf bank_mask:0xf// 000000003658: 0B8D8CFA FF015E0E
	v_mul_f32_dpp v199, v14, v199 row_newbcast:15 row_mask:0xf bank_mask:0xf// 000000003660: 0B8F8EFA FF015F0E
	v_mov_b32_e32 v46, 0x358637bd                              // 000000003668: 7E5C02FF 358637BD
	v_mov_b32_e32 v47, 0x358637bd                              // 000000003670: 7E5E02FF 358637BD
	v_max3_f32 v46, |v168|, |v169|, v46                        // 000000003678: D1D3032E 04BB53A8
	v_max3_f32 v46, |v170|, |v171|, v46                        // 000000003680: D1D3032E 04BB57AA
	v_max3_f32 v47, |v172|, |v173|, v47                        // 000000003688: D1D3032F 04BF5BAC
	v_max3_f32 v47, |v174|, |v175|, v47                        // 000000003690: D1D3032F 04BF5FAE
	v_max3_f32 v46, |v176|, |v177|, v46                        // 000000003698: D1D3032E 04BB63B0
	v_max3_f32 v46, |v178|, |v179|, v46                        // 0000000036A0: D1D3032E 04BB67B2
	v_max3_f32 v47, |v180|, |v181|, v47                        // 0000000036A8: D1D3032F 04BF6BB4
	v_max3_f32 v47, |v182|, |v183|, v47                        // 0000000036B0: D1D3032F 04BF6FB6
	v_max3_f32 v46, |v184|, |v185|, v46                        // 0000000036B8: D1D3032E 04BB73B8
	v_max3_f32 v46, |v186|, |v187|, v46                        // 0000000036C0: D1D3032E 04BB77BA
	v_max3_f32 v47, |v188|, |v189|, v47                        // 0000000036C8: D1D3032F 04BF7BBC
	v_max3_f32 v47, |v190|, |v191|, v47                        // 0000000036D0: D1D3032F 04BF7FBE
	v_max3_f32 v46, |v192|, |v193|, v46                        // 0000000036D8: D1D3032E 04BB83C0
	v_max3_f32 v46, |v194|, |v195|, v46                        // 0000000036E0: D1D3032E 04BB87C2
	v_max3_f32 v47, |v196|, |v197|, v47                        // 0000000036E8: D1D3032F 04BF8BC4
	v_max3_f32 v47, |v198|, |v199|, v47                        // 0000000036F0: D1D3032F 04BF8FC6
	ds_write_b64 v3, v[46:47]                                  // 0000000036F8: D89A0000 00002E03
	s_waitcnt lgkmcnt(0)                                       // 000000003700: BF8CC07F
	s_barrier                                                  // 000000003704: BF8A0000
	ds_read_b64 v[46:47], v4                                   // 000000003708: D8EC0000 2E000004
	ds_read_b64 v[48:49], v4 offset:128                        // 000000003710: D8EC0080 30000004
	ds_read_b64 v[50:51], v4 offset:256                        // 000000003718: D8EC0100 32000004
	ds_read_b64 v[52:53], v4 offset:384                        // 000000003720: D8EC0180 34000004
	ds_read_b64 v[54:55], v4 offset:512                        // 000000003728: D8EC0200 36000004
	ds_read_b64 v[56:57], v4 offset:640                        // 000000003730: D8EC0280 38000004
	ds_read_b64 v[58:59], v4 offset:768                        // 000000003738: D8EC0300 3A000004
	ds_read_b64 v[60:61], v4 offset:896                        // 000000003740: D8EC0380 3C000004
	s_waitcnt lgkmcnt(0)                                       // 000000003748: BF8CC07F
	v_mov_b32_e32 v22, 0x358637bd                              // 00000000374C: 7E2C02FF 358637BD
	v_mov_b32_e32 v23, 0x358637bd                              // 000000003754: 7E2E02FF 358637BD
	v_max3_f32 v22, |v46|, |v48|, v22                          // 00000000375C: D1D30316 045A612E
	v_max3_f32 v23, |v47|, |v49|, v23                          // 000000003764: D1D30317 045E632F
	v_max3_f32 v22, |v50|, |v52|, v22                          // 00000000376C: D1D30316 045A6932
	v_max3_f32 v23, |v51|, |v53|, v23                          // 000000003774: D1D30317 045E6B33
	v_max3_f32 v22, |v54|, |v56|, v22                          // 00000000377C: D1D30316 045A7136
	v_max3_f32 v23, |v55|, |v57|, v23                          // 000000003784: D1D30317 045E7337
	v_max3_f32 v22, |v58|, |v60|, v22                          // 00000000378C: D1D30316 045A793A
	v_max3_f32 v23, |v59|, |v61|, v23                          // 000000003794: D1D30317 045E7B3B
	ds_read_b64 v[46:47], v4 offset:1024                       // 00000000379C: D8EC0400 2E000004
	ds_read_b64 v[48:49], v4 offset:1152                       // 0000000037A4: D8EC0480 30000004
	ds_read_b64 v[50:51], v4 offset:1280                       // 0000000037AC: D8EC0500 32000004
	ds_read_b64 v[52:53], v4 offset:1408                       // 0000000037B4: D8EC0580 34000004
	ds_read_b64 v[54:55], v4 offset:1536                       // 0000000037BC: D8EC0600 36000004
	ds_read_b64 v[56:57], v4 offset:1664                       // 0000000037C4: D8EC0680 38000004
	ds_read_b64 v[58:59], v4 offset:1792                       // 0000000037CC: D8EC0700 3A000004
	ds_read_b64 v[60:61], v4 offset:1920                       // 0000000037D4: D8EC0780 3C000004
	s_waitcnt lgkmcnt(0)                                       // 0000000037DC: BF8CC07F
	v_max3_f32 v22, |v46|, |v48|, v22                          // 0000000037E0: D1D30316 045A612E
	v_max3_f32 v23, |v47|, |v49|, v23                          // 0000000037E8: D1D30317 045E632F
	v_max3_f32 v22, |v50|, |v52|, v22                          // 0000000037F0: D1D30316 045A6932
	v_max3_f32 v23, |v51|, |v53|, v23                          // 0000000037F8: D1D30317 045E6B33
	v_max3_f32 v22, |v54|, |v56|, v22                          // 000000003800: D1D30316 045A7136
	v_max3_f32 v23, |v55|, |v57|, v23                          // 000000003808: D1D30317 045E7337
	v_max3_f32 v22, |v58|, |v60|, v22                          // 000000003810: D1D30316 045A793A
	v_max3_f32 v23, |v59|, |v61|, v23                          // 000000003818: D1D30317 045E7B3B
	v_mov_b32_e32 v42, 0x42fe0000                              // 000000003820: 7E5402FF 42FE0000
	v_rcp_f32_e32 v22, v22                                     // 000000003828: 7E2C4516
	v_rcp_f32_e32 v23, v23                                     // 00000000382C: 7E2E4517
	s_nop 1                                                    // 000000003830: BF800001
	v_mul_f32_e32 v22, v42, v22                                // 000000003834: 0A2C2D2A
	v_mul_f32_e32 v23, v42, v23                                // 000000003838: 0A2E2F2A
	v_rcp_f32_e32 v24, v22                                     // 00000000383C: 7E304516
	v_rcp_f32_e32 v25, v23                                     // 000000003840: 7E324517
	v_mov_b32_e32 v42, v22                                     // 000000003844: 7E540316
	v_mov_b32_e32 v43, v22                                     // 000000003848: 7E560316
	v_mov_b32_e32 v44, v23                                     // 00000000384C: 7E580317
	v_mov_b32_e32 v45, v23                                     // 000000003850: 7E5A0317
	v_pk_mul_f32 v[168:169], v[42:43], v[168:169]              // 000000003854: D3B140A8 1803512A
	v_pk_mul_f32 v[170:171], v[42:43], v[170:171]              // 00000000385C: D3B140AA 1803552A
	v_cvt_i32_f32_e32 v168, v168                               // 000000003864: 7F5011A8
	v_cvt_i32_f32_e32 v169, v169                               // 000000003868: 7F5211A9
	v_cvt_i32_f32_e32 v170, v170                               // 00000000386C: 7F5411AA
	v_cvt_i32_f32_e32 v171, v171                               // 000000003870: 7F5611AB
	v_perm_b32 v168, v169, v168, s53                           // 000000003874: D1ED00A8 00D751A9
	v_perm_b32 v168, v170, v168, s54                           // 00000000387C: D1ED00A8 00DB51AA
	v_perm_b32 v168, v171, v168, s55                           // 000000003884: D1ED00A8 00DF51AB
	v_pk_mul_f32 v[172:173], v[44:45], v[172:173]              // 00000000388C: D3B140AC 1803592C
	v_pk_mul_f32 v[174:175], v[44:45], v[174:175]              // 000000003894: D3B140AE 18035D2C
	v_cvt_i32_f32_e32 v172, v172                               // 00000000389C: 7F5811AC
	v_cvt_i32_f32_e32 v173, v173                               // 0000000038A0: 7F5A11AD
	v_cvt_i32_f32_e32 v174, v174                               // 0000000038A4: 7F5C11AE
	v_cvt_i32_f32_e32 v175, v175                               // 0000000038A8: 7F5E11AF
	v_perm_b32 v169, v173, v172, s53                           // 0000000038AC: D1ED00A9 00D759AD
	v_perm_b32 v169, v174, v169, s54                           // 0000000038B4: D1ED00A9 00DB53AE
	v_perm_b32 v169, v175, v169, s55                           // 0000000038BC: D1ED00A9 00DF53AF
	v_pk_mul_f32 v[176:177], v[42:43], v[176:177]              // 0000000038C4: D3B140B0 1803612A
	v_pk_mul_f32 v[178:179], v[42:43], v[178:179]              // 0000000038CC: D3B140B2 1803652A
	v_cvt_i32_f32_e32 v176, v176                               // 0000000038D4: 7F6011B0
	v_cvt_i32_f32_e32 v177, v177                               // 0000000038D8: 7F6211B1
	v_cvt_i32_f32_e32 v178, v178                               // 0000000038DC: 7F6411B2
	v_cvt_i32_f32_e32 v179, v179                               // 0000000038E0: 7F6611B3
	v_perm_b32 v170, v177, v176, s53                           // 0000000038E4: D1ED00AA 00D761B1
	v_perm_b32 v170, v178, v170, s54                           // 0000000038EC: D1ED00AA 00DB55B2
	v_perm_b32 v170, v179, v170, s55                           // 0000000038F4: D1ED00AA 00DF55B3
	v_pk_mul_f32 v[180:181], v[44:45], v[180:181]              // 0000000038FC: D3B140B4 1803692C
	v_pk_mul_f32 v[182:183], v[44:45], v[182:183]              // 000000003904: D3B140B6 18036D2C
	v_cvt_i32_f32_e32 v180, v180                               // 00000000390C: 7F6811B4
	v_cvt_i32_f32_e32 v181, v181                               // 000000003910: 7F6A11B5
	v_cvt_i32_f32_e32 v182, v182                               // 000000003914: 7F6C11B6
	v_cvt_i32_f32_e32 v183, v183                               // 000000003918: 7F6E11B7
	v_perm_b32 v171, v181, v180, s53                           // 00000000391C: D1ED00AB 00D769B5
	v_perm_b32 v171, v182, v171, s54                           // 000000003924: D1ED00AB 00DB57B6
	v_perm_b32 v171, v183, v171, s55                           // 00000000392C: D1ED00AB 00DF57B7
	v_pk_mul_f32 v[184:185], v[42:43], v[184:185]              // 000000003934: D3B140B8 1803712A
	v_pk_mul_f32 v[186:187], v[42:43], v[186:187]              // 00000000393C: D3B140BA 1803752A
	v_cvt_i32_f32_e32 v184, v184                               // 000000003944: 7F7011B8
	v_cvt_i32_f32_e32 v185, v185                               // 000000003948: 7F7211B9
	v_cvt_i32_f32_e32 v186, v186                               // 00000000394C: 7F7411BA
	v_cvt_i32_f32_e32 v187, v187                               // 000000003950: 7F7611BB
	v_perm_b32 v172, v185, v184, s53                           // 000000003954: D1ED00AC 00D771B9
	v_perm_b32 v172, v186, v172, s54                           // 00000000395C: D1ED00AC 00DB59BA
	v_perm_b32 v172, v187, v172, s55                           // 000000003964: D1ED00AC 00DF59BB
	v_pk_mul_f32 v[188:189], v[44:45], v[188:189]              // 00000000396C: D3B140BC 1803792C
	v_pk_mul_f32 v[190:191], v[44:45], v[190:191]              // 000000003974: D3B140BE 18037D2C
	v_cvt_i32_f32_e32 v188, v188                               // 00000000397C: 7F7811BC
	v_cvt_i32_f32_e32 v189, v189                               // 000000003980: 7F7A11BD
	v_cvt_i32_f32_e32 v190, v190                               // 000000003984: 7F7C11BE
	v_cvt_i32_f32_e32 v191, v191                               // 000000003988: 7F7E11BF
	v_perm_b32 v173, v189, v188, s53                           // 00000000398C: D1ED00AD 00D779BD
	v_perm_b32 v173, v190, v173, s54                           // 000000003994: D1ED00AD 00DB5BBE
	v_perm_b32 v173, v191, v173, s55                           // 00000000399C: D1ED00AD 00DF5BBF
	v_pk_mul_f32 v[192:193], v[42:43], v[192:193]              // 0000000039A4: D3B140C0 1803812A
	v_pk_mul_f32 v[194:195], v[42:43], v[194:195]              // 0000000039AC: D3B140C2 1803852A
	v_cvt_i32_f32_e32 v192, v192                               // 0000000039B4: 7F8011C0
	v_cvt_i32_f32_e32 v193, v193                               // 0000000039B8: 7F8211C1
	v_cvt_i32_f32_e32 v194, v194                               // 0000000039BC: 7F8411C2
	v_cvt_i32_f32_e32 v195, v195                               // 0000000039C0: 7F8611C3
	v_perm_b32 v174, v193, v192, s53                           // 0000000039C4: D1ED00AE 00D781C1
	v_perm_b32 v174, v194, v174, s54                           // 0000000039CC: D1ED00AE 00DB5DC2
	v_perm_b32 v174, v195, v174, s55                           // 0000000039D4: D1ED00AE 00DF5DC3
	v_pk_mul_f32 v[196:197], v[44:45], v[196:197]              // 0000000039DC: D3B140C4 1803892C
	v_pk_mul_f32 v[198:199], v[44:45], v[198:199]              // 0000000039E4: D3B140C6 18038D2C
	v_cvt_i32_f32_e32 v196, v196                               // 0000000039EC: 7F8811C4
	v_cvt_i32_f32_e32 v197, v197                               // 0000000039F0: 7F8A11C5
	v_cvt_i32_f32_e32 v198, v198                               // 0000000039F4: 7F8C11C6
	v_cvt_i32_f32_e32 v199, v199                               // 0000000039F8: 7F8E11C7
	v_perm_b32 v175, v197, v196, s53                           // 0000000039FC: D1ED00AF 00D789C5
	v_perm_b32 v175, v198, v175, s54                           // 000000003A04: D1ED00AF 00DB5FC6
	v_perm_b32 v175, v199, v175, s55                           // 000000003A0C: D1ED00AF 00DF5FC7
	ds_write_b32 v12, v168 offset:2048                         // 000000003A14: D81A0800 0000A80C
	ds_write_b32 v12, v169 offset:6144                         // 000000003A1C: D81A1800 0000A90C
	ds_write_b32 v12, v170 offset:3072                         // 000000003A24: D81A0C00 0000AA0C
	ds_write_b32 v12, v171 offset:7168                         // 000000003A2C: D81A1C00 0000AB0C
	ds_write_b32 v12, v172 offset:4096                         // 000000003A34: D81A1000 0000AC0C
	ds_write_b32 v12, v173 offset:8192                         // 000000003A3C: D81A2000 0000AD0C
	ds_write_b32 v12, v174 offset:5120                         // 000000003A44: D81A1400 0000AE0C
	ds_write_b32 v12, v175 offset:9216                         // 000000003A4C: D81A2400 0000AF0C
	s_waitcnt lgkmcnt(0)                                       // 000000003A54: BF8CC07F
	s_barrier                                                  // 000000003A58: BF8A0000
	ds_read_b64 v[168:169], v13 offset:2048                    // 000000003A5C: D8EC0800 A800000D
	ds_read_b64 v[170:171], v13 offset:2176                    // 000000003A64: D8EC0880 AA00000D
	ds_read_b64 v[172:173], v13 offset:3072                    // 000000003A6C: D8EC0C00 AC00000D
	ds_read_b64 v[174:175], v13 offset:3200                    // 000000003A74: D8EC0C80 AE00000D
	ds_read_b64 v[176:177], v13 offset:4096                    // 000000003A7C: D8EC1000 B000000D
	ds_read_b64 v[178:179], v13 offset:4224                    // 000000003A84: D8EC1080 B200000D
	ds_read_b64 v[180:181], v13 offset:5120                    // 000000003A8C: D8EC1400 B400000D
	ds_read_b64 v[182:183], v13 offset:5248                    // 000000003A94: D8EC1480 B600000D
	ds_read_b64 v[184:185], v13 offset:6144                    // 000000003A9C: D8EC1800 B800000D
	ds_read_b64 v[186:187], v13 offset:6272                    // 000000003AA4: D8EC1880 BA00000D
	ds_read_b64 v[188:189], v13 offset:7168                    // 000000003AAC: D8EC1C00 BC00000D
	ds_read_b64 v[190:191], v13 offset:7296                    // 000000003AB4: D8EC1C80 BE00000D
	ds_read_b64 v[192:193], v13 offset:8192                    // 000000003ABC: D8EC2000 C000000D
	ds_read_b64 v[194:195], v13 offset:8320                    // 000000003AC4: D8EC2080 C200000D
	ds_read_b64 v[196:197], v13 offset:9216                    // 000000003ACC: D8EC2400 C400000D
	ds_read_b64 v[198:199], v13 offset:9344                    // 000000003AD4: D8EC2480 C600000D
	s_cmp_lt_i32 s5, 2                                         // 000000003ADC: BF048205
	s_cbranch_scc0 label_165F                                  // 000000003AE0: BF841266

0000000000003ae4 <label_03F9>:
	v_mov_b32_e32 v240, v24                                    // 000000003AE4: 7FE00318
	v_mov_b32_e32 v242, v25                                    // 000000003AE8: 7FE40319
	v_mov_b32_e32 v241, v240                                   // 000000003AEC: 7FE203F0
	v_mov_b32_e32 v243, v242                                   // 000000003AF0: 7FE603F2
	s_waitcnt vmcnt(12) lgkmcnt(0)                             // 000000003AF4: BF8C007C
	s_barrier                                                  // 000000003AF8: BF8A0000
	v_mfma_i32_16x16x32_i8 v[232:235], a[0:1], v[168:169], 0   // 000000003AFC: D3D700E8 0A035100
	v_mfma_i32_16x16x32_i8 v[232:235], a[2:3], v[170:171], v[232:235]// 000000003B04: D3D700E8 0FA35502
	buffer_load_dwordx4 a[80:83], v36, s[92:95], 0 offen       // 000000003B0C: E05C1000 80975024
	v_mfma_i32_16x16x32_i8 v[232:235], a[4:5], v[172:173], v[232:235]// 000000003B14: D3D700E8 0FA35904
	v_mfma_i32_16x16x32_i8 v[232:235], a[6:7], v[174:175], v[232:235]// 000000003B1C: D3D700E8 0FA35D06
	buffer_load_dword v28, s[20:23], 0 offen lds               // 000000003B24: E0511000 8005001C
	buffer_load_dword v28, s[20:23], 0 offen offset:256 lds    // 000000003B2C: E0511100 8005001C
	s_add_u32 m0, 0x820, s51                                   // 000000003B34: 807C33FF 00000820
	v_mfma_i32_16x16x32_i8 v[232:235], a[8:9], v[176:177], v[232:235]// 000000003B3C: D3D700E8 0FA36108
	v_mfma_i32_16x16x32_i8 v[232:235], a[10:11], v[178:179], v[232:235]// 000000003B44: D3D700E8 0FA3650A
	buffer_load_dwordx4 a[84:87], v36, s[92:95], 0 offen offset:1024// 000000003B4C: E05C1400 80975424
	v_mfma_i32_16x16x32_i8 v[232:235], a[12:13], v[180:181], v[232:235]// 000000003B54: D3D700E8 0FA3690C
	v_mfma_i32_16x16x32_i8 v[232:235], a[14:15], v[182:183], v[232:235]// 000000003B5C: D3D700E8 0FA36D0E
	buffer_load_dword v29, s[20:23], 0 offen lds               // 000000003B64: E0511000 8005001D
	buffer_load_dword v29, s[20:23], 0 offen offset:256 lds    // 000000003B6C: E0511100 8005001D
	s_add_u32 m0, 0x1040, s51                                  // 000000003B74: 807C33FF 00001040
	v_mfma_i32_16x16x32_i8 v[236:239], a[0:1], v[184:185], 0   // 000000003B7C: D3D700EC 0A037100
	v_mfma_i32_16x16x32_i8 v[236:239], a[2:3], v[186:187], v[236:239]// 000000003B84: D3D700EC 0FB37502
	buffer_load_dwordx4 a[88:91], v36, s[92:95], 0 offen offset:2048// 000000003B8C: E05C1800 80975824
	v_mfma_i32_16x16x32_i8 v[236:239], a[4:5], v[188:189], v[236:239]// 000000003B94: D3D700EC 0FB37904
	v_mfma_i32_16x16x32_i8 v[236:239], a[6:7], v[190:191], v[236:239]// 000000003B9C: D3D700EC 0FB37D06
	buffer_load_dword v30, s[20:23], 0 offen lds               // 000000003BA4: E0511000 8005001E
	buffer_load_dword v30, s[20:23], 0 offen offset:256 lds    // 000000003BAC: E0511100 8005001E
	s_add_u32 m0, 0x1860, s51                                  // 000000003BB4: 807C33FF 00001860
	v_mfma_i32_16x16x32_i8 v[236:239], a[8:9], v[192:193], v[236:239]// 000000003BBC: D3D700EC 0FB38108
	v_mfma_i32_16x16x32_i8 v[236:239], a[10:11], v[194:195], v[236:239]// 000000003BC4: D3D700EC 0FB3850A
	buffer_load_dwordx4 a[92:95], v36, s[92:95], 0 offen offset:3072// 000000003BCC: E05C1C00 80975C24
	v_mfma_i32_16x16x32_i8 v[236:239], a[12:13], v[196:197], v[236:239]// 000000003BD4: D3D700EC 0FB3890C
	v_mfma_i32_16x16x32_i8 v[236:239], a[14:15], v[198:199], v[236:239]// 000000003BDC: D3D700EC 0FB38D0E
	buffer_load_dword v31, s[20:23], 0 offen lds               // 000000003BE4: E0511000 8005001F
	buffer_load_dword v31, s[20:23], 0 offen offset:256 lds    // 000000003BEC: E0511100 8005001F
	s_add_u32 m0, 0x2080, s51                                  // 000000003BF4: 807C33FF 00002080
	v_cvt_f32_i32_e32 v232, v232                               // 000000003BFC: 7FD00BE8
	v_cvt_f32_i32_e32 v233, v233                               // 000000003C00: 7FD20BE9
	v_cvt_f32_i32_e32 v234, v234                               // 000000003C04: 7FD40BEA
	v_cvt_f32_i32_e32 v235, v235                               // 000000003C08: 7FD60BEB
	v_pk_fma_f32 v[128:129], v[232:233], v[240:241], v[128:129]// 000000003C0C: D3B04080 1E03E1E8
	v_pk_fma_f32 v[130:131], v[234:235], v[240:241], v[130:131]// 000000003C14: D3B04082 1E0BE1EA
	v_mfma_i32_16x16x32_i8 v[232:235], a[16:17], v[168:169], 0 // 000000003C1C: D3D700E8 0A035110
	v_mfma_i32_16x16x32_i8 v[232:235], a[18:19], v[170:171], v[232:235]// 000000003C24: D3D700E8 0FA35512
	buffer_load_dwordx4 a[96:99], v37, s[92:95], 0 offen       // 000000003C2C: E05C1000 80976025
	v_mfma_i32_16x16x32_i8 v[232:235], a[20:21], v[172:173], v[232:235]// 000000003C34: D3D700E8 0FA35914
	v_mfma_i32_16x16x32_i8 v[232:235], a[22:23], v[174:175], v[232:235]// 000000003C3C: D3D700E8 0FA35D16
	buffer_load_dword v32, s[20:23], 0 offen lds               // 000000003C44: E0511000 80050020
	buffer_load_dword v32, s[20:23], 0 offen offset:256 lds    // 000000003C4C: E0511100 80050020
	s_add_u32 m0, 0x28a0, s51                                  // 000000003C54: 807C33FF 000028A0
	v_mfma_i32_16x16x32_i8 v[232:235], a[24:25], v[176:177], v[232:235]// 000000003C5C: D3D700E8 0FA36118
	v_mfma_i32_16x16x32_i8 v[232:235], a[26:27], v[178:179], v[232:235]// 000000003C64: D3D700E8 0FA3651A
	buffer_load_dwordx4 a[100:103], v37, s[92:95], 0 offen offset:1024// 000000003C6C: E05C1400 80976425
	v_mfma_i32_16x16x32_i8 v[232:235], a[28:29], v[180:181], v[232:235]// 000000003C74: D3D700E8 0FA3691C
	v_mfma_i32_16x16x32_i8 v[232:235], a[30:31], v[182:183], v[232:235]// 000000003C7C: D3D700E8 0FA36D1E
	buffer_load_dword v33, s[20:23], 0 offen lds               // 000000003C84: E0511000 80050021
	buffer_load_dword v33, s[20:23], 0 offen offset:256 lds    // 000000003C8C: E0511100 80050021
	s_add_u32 m0, 0x30c0, s51                                  // 000000003C94: 807C33FF 000030C0
	v_cvt_f32_i32_e32 v236, v236                               // 000000003C9C: 7FD80BEC
	v_cvt_f32_i32_e32 v237, v237                               // 000000003CA0: 7FDA0BED
	v_cvt_f32_i32_e32 v238, v238                               // 000000003CA4: 7FDC0BEE
	v_cvt_f32_i32_e32 v239, v239                               // 000000003CA8: 7FDE0BEF
	v_pk_fma_f32 v[132:133], v[236:237], v[242:243], v[132:133]// 000000003CAC: D3B04084 1E13E5EC
	v_pk_fma_f32 v[134:135], v[238:239], v[242:243], v[134:135]// 000000003CB4: D3B04086 1E1BE5EE
	v_mfma_i32_16x16x32_i8 v[236:239], a[16:17], v[184:185], 0 // 000000003CBC: D3D700EC 0A037110
	v_mfma_i32_16x16x32_i8 v[236:239], a[18:19], v[186:187], v[236:239]// 000000003CC4: D3D700EC 0FB37512
	buffer_load_dwordx4 a[104:107], v37, s[92:95], 0 offen offset:2048// 000000003CCC: E05C1800 80976825
	v_mfma_i32_16x16x32_i8 v[236:239], a[20:21], v[188:189], v[236:239]// 000000003CD4: D3D700EC 0FB37914
	v_mfma_i32_16x16x32_i8 v[236:239], a[22:23], v[190:191], v[236:239]// 000000003CDC: D3D700EC 0FB37D16
	buffer_load_dword v34, s[20:23], 0 offen lds               // 000000003CE4: E0511000 80050022
	buffer_load_dword v34, s[20:23], 0 offen offset:256 lds    // 000000003CEC: E0511100 80050022
	s_add_u32 m0, 0x38e0, s51                                  // 000000003CF4: 807C33FF 000038E0
	v_mfma_i32_16x16x32_i8 v[236:239], a[24:25], v[192:193], v[236:239]// 000000003CFC: D3D700EC 0FB38118
	v_mfma_i32_16x16x32_i8 v[236:239], a[26:27], v[194:195], v[236:239]// 000000003D04: D3D700EC 0FB3851A
	buffer_load_dwordx4 a[108:111], v37, s[92:95], 0 offen offset:3072// 000000003D0C: E05C1C00 80976C25
	v_mfma_i32_16x16x32_i8 v[236:239], a[28:29], v[196:197], v[236:239]// 000000003D14: D3D700EC 0FB3891C
	v_mfma_i32_16x16x32_i8 v[236:239], a[30:31], v[198:199], v[236:239]// 000000003D1C: D3D700EC 0FB38D1E
	buffer_load_dword v35, s[20:23], 0 offen lds               // 000000003D24: E0511000 80050023
	buffer_load_dword v35, s[20:23], 0 offen offset:256 lds    // 000000003D2C: E0511100 80050023
	s_add_u32 m0, 0, s50                                       // 000000003D34: 807C3280
	buffer_load_dword v15, v6, s[28:31], 0 offen               // 000000003D38: E0501000 80070F06
	v_cvt_f32_i32_e32 v232, v232                               // 000000003D40: 7FD00BE8
	v_cvt_f32_i32_e32 v233, v233                               // 000000003D44: 7FD20BE9
	v_cvt_f32_i32_e32 v234, v234                               // 000000003D48: 7FD40BEA
	v_cvt_f32_i32_e32 v235, v235                               // 000000003D4C: 7FD60BEB
	v_pk_fma_f32 v[136:137], v[232:233], v[240:241], v[136:137]// 000000003D50: D3B04088 1E23E1E8
	v_pk_fma_f32 v[138:139], v[234:235], v[240:241], v[138:139]// 000000003D58: D3B0408A 1E2BE1EA
	s_waitcnt vmcnt(33)                                        // 000000003D60: BF8C8F71
	v_mfma_i32_16x16x32_i8 v[232:235], a[32:33], v[168:169], 0 // 000000003D64: D3D700E8 0A035120
	v_mfma_i32_16x16x32_i8 v[232:235], a[34:35], v[170:171], v[232:235]// 000000003D6C: D3D700E8 0FA35522
	buffer_load_dwordx4 a[112:115], v38, s[92:95], 0 offen     // 000000003D74: E05C1000 80977026
	v_mfma_i32_16x16x32_i8 v[232:235], a[36:37], v[172:173], v[232:235]// 000000003D7C: D3D700E8 0FA35924
	v_mfma_i32_16x16x32_i8 v[232:235], a[38:39], v[174:175], v[232:235]// 000000003D84: D3D700E8 0FA35D26
	v_mfma_i32_16x16x32_i8 v[232:235], a[40:41], v[176:177], v[232:235]// 000000003D8C: D3D700E8 0FA36128
	v_mfma_i32_16x16x32_i8 v[232:235], a[42:43], v[178:179], v[232:235]// 000000003D94: D3D700E8 0FA3652A
	buffer_load_dwordx4 a[116:119], v38, s[92:95], 0 offen offset:1024// 000000003D9C: E05C1400 80977426
	v_mfma_i32_16x16x32_i8 v[232:235], a[44:45], v[180:181], v[232:235]// 000000003DA4: D3D700E8 0FA3692C
	v_mfma_i32_16x16x32_i8 v[232:235], a[46:47], v[182:183], v[232:235]// 000000003DAC: D3D700E8 0FA36D2E
	v_cvt_f32_i32_e32 v236, v236                               // 000000003DB4: 7FD80BEC
	v_cvt_f32_i32_e32 v237, v237                               // 000000003DB8: 7FDA0BED
	v_cvt_f32_i32_e32 v238, v238                               // 000000003DBC: 7FDC0BEE
	v_cvt_f32_i32_e32 v239, v239                               // 000000003DC0: 7FDE0BEF
	v_pk_fma_f32 v[140:141], v[236:237], v[242:243], v[140:141]// 000000003DC4: D3B0408C 1E33E5EC
	v_pk_fma_f32 v[142:143], v[238:239], v[242:243], v[142:143]// 000000003DCC: D3B0408E 1E3BE5EE
	v_mfma_i32_16x16x32_i8 v[236:239], a[32:33], v[184:185], 0 // 000000003DD4: D3D700EC 0A037120
	v_mfma_i32_16x16x32_i8 v[236:239], a[34:35], v[186:187], v[236:239]// 000000003DDC: D3D700EC 0FB37522
	buffer_load_dwordx4 a[120:123], v38, s[92:95], 0 offen offset:2048// 000000003DE4: E05C1800 80977826
	v_mfma_i32_16x16x32_i8 v[236:239], a[36:37], v[188:189], v[236:239]// 000000003DEC: D3D700EC 0FB37924
	v_mfma_i32_16x16x32_i8 v[236:239], a[38:39], v[190:191], v[236:239]// 000000003DF4: D3D700EC 0FB37D26
	v_mfma_i32_16x16x32_i8 v[236:239], a[40:41], v[192:193], v[236:239]// 000000003DFC: D3D700EC 0FB38128
	v_mfma_i32_16x16x32_i8 v[236:239], a[42:43], v[194:195], v[236:239]// 000000003E04: D3D700EC 0FB3852A
	buffer_load_dwordx4 a[124:127], v38, s[92:95], 0 offen offset:3072// 000000003E0C: E05C1C00 80977C26
	v_mfma_i32_16x16x32_i8 v[236:239], a[44:45], v[196:197], v[236:239]// 000000003E14: D3D700EC 0FB3892C
	v_mfma_i32_16x16x32_i8 v[236:239], a[46:47], v[198:199], v[236:239]// 000000003E1C: D3D700EC 0FB38D2E
	v_cvt_f32_i32_e32 v232, v232                               // 000000003E24: 7FD00BE8
	v_cvt_f32_i32_e32 v233, v233                               // 000000003E28: 7FD20BE9
	v_cvt_f32_i32_e32 v234, v234                               // 000000003E2C: 7FD40BEA
	v_cvt_f32_i32_e32 v235, v235                               // 000000003E30: 7FD60BEB
	v_pk_fma_f32 v[144:145], v[232:233], v[240:241], v[144:145]// 000000003E34: D3B04090 1E43E1E8
	v_pk_fma_f32 v[146:147], v[234:235], v[240:241], v[146:147]// 000000003E3C: D3B04092 1E4BE1EA
	s_waitcnt vmcnt(33)                                        // 000000003E44: BF8C8F71
	v_mfma_i32_16x16x32_i8 v[232:235], a[48:49], v[168:169], 0 // 000000003E48: D3D700E8 0A035130
	v_mfma_i32_16x16x32_i8 v[232:235], a[50:51], v[170:171], v[232:235]// 000000003E50: D3D700E8 0FA35532
	buffer_load_dwordx4 a[128:131], v39, s[92:95], 0 offen     // 000000003E58: E05C1000 80978027
	v_mfma_i32_16x16x32_i8 v[232:235], a[52:53], v[172:173], v[232:235]// 000000003E60: D3D700E8 0FA35934
	v_mfma_i32_16x16x32_i8 v[232:235], a[54:55], v[174:175], v[232:235]// 000000003E68: D3D700E8 0FA35D36
	v_mfma_i32_16x16x32_i8 v[232:235], a[56:57], v[176:177], v[232:235]// 000000003E70: D3D700E8 0FA36138
	v_mfma_i32_16x16x32_i8 v[232:235], a[58:59], v[178:179], v[232:235]// 000000003E78: D3D700E8 0FA3653A
	buffer_load_dwordx4 a[132:135], v39, s[92:95], 0 offen offset:1024// 000000003E80: E05C1400 80978427
	v_mfma_i32_16x16x32_i8 v[232:235], a[60:61], v[180:181], v[232:235]// 000000003E88: D3D700E8 0FA3693C
	v_mfma_i32_16x16x32_i8 v[232:235], a[62:63], v[182:183], v[232:235]// 000000003E90: D3D700E8 0FA36D3E
	v_cvt_f32_i32_e32 v236, v236                               // 000000003E98: 7FD80BEC
	v_cvt_f32_i32_e32 v237, v237                               // 000000003E9C: 7FDA0BED
	v_cvt_f32_i32_e32 v238, v238                               // 000000003EA0: 7FDC0BEE
	v_cvt_f32_i32_e32 v239, v239                               // 000000003EA4: 7FDE0BEF
	v_pk_fma_f32 v[148:149], v[236:237], v[242:243], v[148:149]// 000000003EA8: D3B04094 1E53E5EC
	v_pk_fma_f32 v[150:151], v[238:239], v[242:243], v[150:151]// 000000003EB0: D3B04096 1E5BE5EE
	v_mfma_i32_16x16x32_i8 v[236:239], a[48:49], v[184:185], 0 // 000000003EB8: D3D700EC 0A037130
	v_mfma_i32_16x16x32_i8 v[236:239], a[50:51], v[186:187], v[236:239]// 000000003EC0: D3D700EC 0FB37532
	buffer_load_dwordx4 a[136:139], v39, s[92:95], 0 offen offset:2048// 000000003EC8: E05C1800 80978827
	v_mfma_i32_16x16x32_i8 v[236:239], a[52:53], v[188:189], v[236:239]// 000000003ED0: D3D700EC 0FB37934
	v_mfma_i32_16x16x32_i8 v[236:239], a[54:55], v[190:191], v[236:239]// 000000003ED8: D3D700EC 0FB37D36
	v_mfma_i32_16x16x32_i8 v[236:239], a[56:57], v[192:193], v[236:239]// 000000003EE0: D3D700EC 0FB38138
	v_mfma_i32_16x16x32_i8 v[236:239], a[58:59], v[194:195], v[236:239]// 000000003EE8: D3D700EC 0FB3853A
	buffer_load_dwordx4 a[140:143], v39, s[92:95], 0 offen offset:3072// 000000003EF0: E05C1C00 80978C27
	v_mfma_i32_16x16x32_i8 v[236:239], a[60:61], v[196:197], v[236:239]// 000000003EF8: D3D700EC 0FB3893C
	v_mfma_i32_16x16x32_i8 v[236:239], a[62:63], v[198:199], v[236:239]// 000000003F00: D3D700EC 0FB38D3E
	v_cvt_f32_i32_e32 v232, v232                               // 000000003F08: 7FD00BE8
	v_cvt_f32_i32_e32 v233, v233                               // 000000003F0C: 7FD20BE9
	v_cvt_f32_i32_e32 v234, v234                               // 000000003F10: 7FD40BEA
	v_cvt_f32_i32_e32 v235, v235                               // 000000003F14: 7FD60BEB
	v_pk_fma_f32 v[152:153], v[232:233], v[240:241], v[152:153]// 000000003F18: D3B04098 1E63E1E8
	v_pk_fma_f32 v[154:155], v[234:235], v[240:241], v[154:155]// 000000003F20: D3B0409A 1E6BE1EA
	s_waitcnt vmcnt(33)                                        // 000000003F28: BF8C8F71
	v_mfma_i32_16x16x32_i8 v[232:235], a[64:65], v[168:169], 0 // 000000003F2C: D3D700E8 0A035140
	v_mfma_i32_16x16x32_i8 v[232:235], a[66:67], v[170:171], v[232:235]// 000000003F34: D3D700E8 0FA35542
	buffer_load_dwordx4 a[144:147], v40, s[92:95], 0 offen     // 000000003F3C: E05C1000 80979028
	v_mfma_i32_16x16x32_i8 v[232:235], a[68:69], v[172:173], v[232:235]// 000000003F44: D3D700E8 0FA35944
	v_mfma_i32_16x16x32_i8 v[232:235], a[70:71], v[174:175], v[232:235]// 000000003F4C: D3D700E8 0FA35D46
	v_mfma_i32_16x16x32_i8 v[232:235], a[72:73], v[176:177], v[232:235]// 000000003F54: D3D700E8 0FA36148
	v_mfma_i32_16x16x32_i8 v[232:235], a[74:75], v[178:179], v[232:235]// 000000003F5C: D3D700E8 0FA3654A
	buffer_load_dwordx4 a[148:151], v40, s[92:95], 0 offen offset:1024// 000000003F64: E05C1400 80979428
	v_mfma_i32_16x16x32_i8 v[232:235], a[76:77], v[180:181], v[232:235]// 000000003F6C: D3D700E8 0FA3694C
	v_mfma_i32_16x16x32_i8 v[232:235], a[78:79], v[182:183], v[232:235]// 000000003F74: D3D700E8 0FA36D4E
	v_cvt_f32_i32_e32 v236, v236                               // 000000003F7C: 7FD80BEC
	v_cvt_f32_i32_e32 v237, v237                               // 000000003F80: 7FDA0BED
	v_cvt_f32_i32_e32 v238, v238                               // 000000003F84: 7FDC0BEE
	v_cvt_f32_i32_e32 v239, v239                               // 000000003F88: 7FDE0BEF
	v_pk_fma_f32 v[156:157], v[236:237], v[242:243], v[156:157]// 000000003F8C: D3B0409C 1E73E5EC
	v_pk_fma_f32 v[158:159], v[238:239], v[242:243], v[158:159]// 000000003F94: D3B0409E 1E7BE5EE
	v_mfma_i32_16x16x32_i8 v[236:239], a[64:65], v[184:185], 0 // 000000003F9C: D3D700EC 0A037140
	v_mfma_i32_16x16x32_i8 v[236:239], a[66:67], v[186:187], v[236:239]// 000000003FA4: D3D700EC 0FB37542
	buffer_load_dwordx4 a[152:155], v40, s[92:95], 0 offen offset:2048// 000000003FAC: E05C1800 80979828
	v_mfma_i32_16x16x32_i8 v[236:239], a[68:69], v[188:189], v[236:239]// 000000003FB4: D3D700EC 0FB37944
	v_mfma_i32_16x16x32_i8 v[236:239], a[70:71], v[190:191], v[236:239]// 000000003FBC: D3D700EC 0FB37D46
	v_mfma_i32_16x16x32_i8 v[236:239], a[72:73], v[192:193], v[236:239]// 000000003FC4: D3D700EC 0FB38148
	v_mfma_i32_16x16x32_i8 v[236:239], a[74:75], v[194:195], v[236:239]// 000000003FCC: D3D700EC 0FB3854A
	buffer_load_dwordx4 a[156:159], v40, s[92:95], 0 offen offset:3072// 000000003FD4: E05C1C00 80979C28
	v_mfma_i32_16x16x32_i8 v[236:239], a[76:77], v[196:197], v[236:239]// 000000003FDC: D3D700EC 0FB3894C
	v_mfma_i32_16x16x32_i8 v[236:239], a[78:79], v[198:199], v[236:239]// 000000003FE4: D3D700EC 0FB38D4E
	v_cvt_f32_i32_e32 v232, v232                               // 000000003FEC: 7FD00BE8
	v_cvt_f32_i32_e32 v233, v233                               // 000000003FF0: 7FD20BE9
	v_cvt_f32_i32_e32 v234, v234                               // 000000003FF4: 7FD40BEA
	v_cvt_f32_i32_e32 v235, v235                               // 000000003FF8: 7FD60BEB
	v_pk_fma_f32 v[160:161], v[232:233], v[240:241], v[160:161]// 000000003FFC: D3B040A0 1E83E1E8
	v_pk_fma_f32 v[162:163], v[234:235], v[240:241], v[162:163]// 000000004004: D3B040A2 1E8BE1EA
	v_cvt_f32_i32_e32 v236, v236                               // 00000000400C: 7FD80BEC
	v_cvt_f32_i32_e32 v237, v237                               // 000000004010: 7FDA0BED
	v_cvt_f32_i32_e32 v238, v238                               // 000000004014: 7FDC0BEE
	v_cvt_f32_i32_e32 v239, v239                               // 000000004018: 7FDE0BEF
	v_pk_fma_f32 v[164:165], v[236:237], v[242:243], v[164:165]// 00000000401C: D3B040A4 1E93E5EC
	v_pk_fma_f32 v[166:167], v[238:239], v[242:243], v[166:167]// 000000004024: D3B040A6 1E9BE5EE
	s_waitcnt vmcnt(12)                                        // 00000000402C: BF8C0F7C
	s_barrier                                                  // 000000004030: BF8A0000
	v_mfma_i32_16x16x32_i8 v[232:235], a[80:81], v[168:169], 0 // 000000004034: D3D700E8 0A035150
	ds_read_b64 v[200:201], v2 offset:18688                    // 00000000403C: D8EC4900 C8000002
	ds_read_b64 v[204:205], v2 offset:27008                    // 000000004044: D8EC6980 CC000002
	v_mfma_i32_16x16x32_i8 v[232:235], a[82:83], v[170:171], v[232:235]// 00000000404C: D3D700E8 0FA35552
	buffer_load_dwordx4 a[0:3], v36, s[24:27], 0 offen         // 000000004054: E05C1000 80860024
	v_mfma_i32_16x16x32_i8 v[232:235], a[84:85], v[172:173], v[232:235]// 00000000405C: D3D700E8 0FA35954
	ds_read_b64 v[208:209], v2 offset:18816                    // 000000004064: D8EC4980 D0000002
	ds_read_b64 v[212:213], v2 offset:27136                    // 00000000406C: D8EC6A00 D4000002
	v_mfma_i32_16x16x32_i8 v[232:235], a[86:87], v[174:175], v[232:235]// 000000004074: D3D700E8 0FA35D56
	v_mfma_i32_16x16x32_i8 v[232:235], a[88:89], v[176:177], v[232:235]// 00000000407C: D3D700E8 0FA36158
	ds_read_b64 v[216:217], v2 offset:18944                    // 000000004084: D8EC4A00 D8000002
	ds_read_b64 v[220:221], v2 offset:27264                    // 00000000408C: D8EC6A80 DC000002
	v_mfma_i32_16x16x32_i8 v[232:235], a[90:91], v[178:179], v[232:235]// 000000004094: D3D700E8 0FA3655A
	buffer_load_dwordx4 a[4:7], v36, s[24:27], 0 offen offset:1024// 00000000409C: E05C1400 80860424
	v_mfma_i32_16x16x32_i8 v[232:235], a[92:93], v[180:181], v[232:235]// 0000000040A4: D3D700E8 0FA3695C
	ds_read_b64 v[224:225], v2 offset:19072                    // 0000000040AC: D8EC4A80 E0000002
	ds_read_b64 v[228:229], v2 offset:27392                    // 0000000040B4: D8EC6B00 E4000002
	v_mfma_i32_16x16x32_i8 v[232:235], a[94:95], v[182:183], v[232:235]// 0000000040BC: D3D700E8 0FA36D5E
	s_waitcnt lgkmcnt(4)                                       // 0000000040C4: BF8CC47F
	v_and_b32_e32 v203, 0xffff0000, v201                       // 0000000040C8: 279792FF FFFF0000
	v_lshlrev_b32_e32 v202, 16, v201                           // 0000000040D0: 25959290
	v_and_b32_e32 v201, 0xffff0000, v200                       // 0000000040D4: 279390FF FFFF0000
	v_lshlrev_b32_e32 v200, 16, v200                           // 0000000040DC: 25919090
	v_and_b32_e32 v207, 0xffff0000, v205                       // 0000000040E0: 279F9AFF FFFF0000
	v_lshlrev_b32_e32 v206, 16, v205                           // 0000000040E8: 259D9A90
	v_and_b32_e32 v205, 0xffff0000, v204                       // 0000000040EC: 279B98FF FFFF0000
	v_lshlrev_b32_e32 v204, 16, v204                           // 0000000040F4: 25999890
	v_and_b32_e32 v211, 0xffff0000, v209                       // 0000000040F8: 27A7A2FF FFFF0000
	v_lshlrev_b32_e32 v210, 16, v209                           // 000000004100: 25A5A290
	v_and_b32_e32 v209, 0xffff0000, v208                       // 000000004104: 27A3A0FF FFFF0000
	v_lshlrev_b32_e32 v208, 16, v208                           // 00000000410C: 25A1A090
	v_and_b32_e32 v215, 0xffff0000, v213                       // 000000004110: 27AFAAFF FFFF0000
	v_lshlrev_b32_e32 v214, 16, v213                           // 000000004118: 25ADAA90
	v_and_b32_e32 v213, 0xffff0000, v212                       // 00000000411C: 27ABA8FF FFFF0000
	v_lshlrev_b32_e32 v212, 16, v212                           // 000000004124: 25A9A890
	v_mul_f32_dpp v200, v15, v200 row_newbcast:0 row_mask:0xf bank_mask:0xf// 000000004128: 0B9190FA FF01500F
	v_mul_f32_dpp v201, v15, v201 row_newbcast:1 row_mask:0xf bank_mask:0xf// 000000004130: 0B9392FA FF01510F
	v_mul_f32_dpp v202, v15, v202 row_newbcast:2 row_mask:0xf bank_mask:0xf// 000000004138: 0B9594FA FF01520F
	v_mul_f32_dpp v203, v15, v203 row_newbcast:3 row_mask:0xf bank_mask:0xf// 000000004140: 0B9796FA FF01530F
	v_mul_f32_dpp v204, v15, v204 row_newbcast:0 row_mask:0xf bank_mask:0xf// 000000004148: 0B9998FA FF01500F
	v_mul_f32_dpp v205, v15, v205 row_newbcast:1 row_mask:0xf bank_mask:0xf// 000000004150: 0B9B9AFA FF01510F
	v_mul_f32_dpp v206, v15, v206 row_newbcast:2 row_mask:0xf bank_mask:0xf// 000000004158: 0B9D9CFA FF01520F
	v_mul_f32_dpp v207, v15, v207 row_newbcast:3 row_mask:0xf bank_mask:0xf// 000000004160: 0B9F9EFA FF01530F
	v_mul_f32_dpp v208, v15, v208 row_newbcast:4 row_mask:0xf bank_mask:0xf// 000000004168: 0BA1A0FA FF01540F
	v_mul_f32_dpp v209, v15, v209 row_newbcast:5 row_mask:0xf bank_mask:0xf// 000000004170: 0BA3A2FA FF01550F
	v_mul_f32_dpp v210, v15, v210 row_newbcast:6 row_mask:0xf bank_mask:0xf// 000000004178: 0BA5A4FA FF01560F
	v_mul_f32_dpp v211, v15, v211 row_newbcast:7 row_mask:0xf bank_mask:0xf// 000000004180: 0BA7A6FA FF01570F
	v_mul_f32_dpp v212, v15, v212 row_newbcast:4 row_mask:0xf bank_mask:0xf// 000000004188: 0BA9A8FA FF01540F
	v_mul_f32_dpp v213, v15, v213 row_newbcast:5 row_mask:0xf bank_mask:0xf// 000000004190: 0BABAAFA FF01550F
	v_mul_f32_dpp v214, v15, v214 row_newbcast:6 row_mask:0xf bank_mask:0xf// 000000004198: 0BADACFA FF01560F
	v_mul_f32_dpp v215, v15, v215 row_newbcast:7 row_mask:0xf bank_mask:0xf// 0000000041A0: 0BAFAEFA FF01570F
	v_mfma_i32_16x16x32_i8 v[236:239], a[80:81], v[184:185], 0 // 0000000041A8: D3D700EC 0A037150
	v_mfma_i32_16x16x32_i8 v[236:239], a[82:83], v[186:187], v[236:239]// 0000000041B0: D3D700EC 0FB37552
	buffer_load_dwordx4 a[8:11], v36, s[24:27], 0 offen offset:2048// 0000000041B8: E05C1800 80860824
	v_mfma_i32_16x16x32_i8 v[236:239], a[84:85], v[188:189], v[236:239]// 0000000041C0: D3D700EC 0FB37954
	v_mfma_i32_16x16x32_i8 v[236:239], a[86:87], v[190:191], v[236:239]// 0000000041C8: D3D700EC 0FB37D56
	v_mfma_i32_16x16x32_i8 v[236:239], a[88:89], v[192:193], v[236:239]// 0000000041D0: D3D700EC 0FB38158
	v_mfma_i32_16x16x32_i8 v[236:239], a[90:91], v[194:195], v[236:239]// 0000000041D8: D3D700EC 0FB3855A
	buffer_load_dwordx4 a[12:15], v36, s[24:27], 0 offen offset:3072// 0000000041E0: E05C1C00 80860C24
	v_mfma_i32_16x16x32_i8 v[236:239], a[92:93], v[196:197], v[236:239]// 0000000041E8: D3D700EC 0FB3895C
	v_mfma_i32_16x16x32_i8 v[236:239], a[94:95], v[198:199], v[236:239]// 0000000041F0: D3D700EC 0FB38D5E
	s_waitcnt lgkmcnt(0)                                       // 0000000041F8: BF8CC07F
	v_and_b32_e32 v219, 0xffff0000, v217                       // 0000000041FC: 27B7B2FF FFFF0000
	v_lshlrev_b32_e32 v218, 16, v217                           // 000000004204: 25B5B290
	v_and_b32_e32 v217, 0xffff0000, v216                       // 000000004208: 27B3B0FF FFFF0000
	v_lshlrev_b32_e32 v216, 16, v216                           // 000000004210: 25B1B090
	v_and_b32_e32 v223, 0xffff0000, v221                       // 000000004214: 27BFBAFF FFFF0000
	v_lshlrev_b32_e32 v222, 16, v221                           // 00000000421C: 25BDBA90
	v_and_b32_e32 v221, 0xffff0000, v220                       // 000000004220: 27BBB8FF FFFF0000
	v_lshlrev_b32_e32 v220, 16, v220                           // 000000004228: 25B9B890
	v_and_b32_e32 v227, 0xffff0000, v225                       // 00000000422C: 27C7C2FF FFFF0000
	v_lshlrev_b32_e32 v226, 16, v225                           // 000000004234: 25C5C290
	v_and_b32_e32 v225, 0xffff0000, v224                       // 000000004238: 27C3C0FF FFFF0000
	v_lshlrev_b32_e32 v224, 16, v224                           // 000000004240: 25C1C090
	v_and_b32_e32 v231, 0xffff0000, v229                       // 000000004244: 27CFCAFF FFFF0000
	v_lshlrev_b32_e32 v230, 16, v229                           // 00000000424C: 25CDCA90
	v_and_b32_e32 v229, 0xffff0000, v228                       // 000000004250: 27CBC8FF FFFF0000
	v_lshlrev_b32_e32 v228, 16, v228                           // 000000004258: 25C9C890
	v_mul_f32_dpp v216, v15, v216 row_newbcast:8 row_mask:0xf bank_mask:0xf// 00000000425C: 0BB1B0FA FF01580F
	v_mul_f32_dpp v217, v15, v217 row_newbcast:9 row_mask:0xf bank_mask:0xf// 000000004264: 0BB3B2FA FF01590F
	v_mul_f32_dpp v218, v15, v218 row_newbcast:10 row_mask:0xf bank_mask:0xf// 00000000426C: 0BB5B4FA FF015A0F
	v_mul_f32_dpp v219, v15, v219 row_newbcast:11 row_mask:0xf bank_mask:0xf// 000000004274: 0BB7B6FA FF015B0F
	v_mul_f32_dpp v220, v15, v220 row_newbcast:8 row_mask:0xf bank_mask:0xf// 00000000427C: 0BB9B8FA FF01580F
	v_mul_f32_dpp v221, v15, v221 row_newbcast:9 row_mask:0xf bank_mask:0xf// 000000004284: 0BBBBAFA FF01590F
	v_mul_f32_dpp v222, v15, v222 row_newbcast:10 row_mask:0xf bank_mask:0xf// 00000000428C: 0BBDBCFA FF015A0F
	v_mul_f32_dpp v223, v15, v223 row_newbcast:11 row_mask:0xf bank_mask:0xf// 000000004294: 0BBFBEFA FF015B0F
	v_mul_f32_dpp v224, v15, v224 row_newbcast:12 row_mask:0xf bank_mask:0xf// 00000000429C: 0BC1C0FA FF015C0F
	v_mul_f32_dpp v225, v15, v225 row_newbcast:13 row_mask:0xf bank_mask:0xf// 0000000042A4: 0BC3C2FA FF015D0F
	v_mul_f32_dpp v226, v15, v226 row_newbcast:14 row_mask:0xf bank_mask:0xf// 0000000042AC: 0BC5C4FA FF015E0F
	v_mul_f32_dpp v227, v15, v227 row_newbcast:15 row_mask:0xf bank_mask:0xf// 0000000042B4: 0BC7C6FA FF015F0F
	v_mul_f32_dpp v228, v15, v228 row_newbcast:12 row_mask:0xf bank_mask:0xf// 0000000042BC: 0BC9C8FA FF015C0F
	v_mul_f32_dpp v229, v15, v229 row_newbcast:13 row_mask:0xf bank_mask:0xf// 0000000042C4: 0BCBCAFA FF015D0F
	v_mul_f32_dpp v230, v15, v230 row_newbcast:14 row_mask:0xf bank_mask:0xf// 0000000042CC: 0BCDCCFA FF015E0F
	v_mul_f32_dpp v231, v15, v231 row_newbcast:15 row_mask:0xf bank_mask:0xf// 0000000042D4: 0BCFCEFA FF015F0F
	v_cvt_f32_i32_e32 v232, v232                               // 0000000042DC: 7FD00BE8
	v_cvt_f32_i32_e32 v233, v233                               // 0000000042E0: 7FD20BE9
	v_cvt_f32_i32_e32 v234, v234                               // 0000000042E4: 7FD40BEA
	v_cvt_f32_i32_e32 v235, v235                               // 0000000042E8: 7FD60BEB
	v_pk_fma_f32 v[64:65], v[232:233], v[240:241], v[64:65]    // 0000000042EC: D3B04040 1D03E1E8
	v_pk_fma_f32 v[66:67], v[234:235], v[240:241], v[66:67]    // 0000000042F4: D3B04042 1D0BE1EA
	v_mfma_i32_16x16x32_i8 v[232:235], a[96:97], v[168:169], 0 // 0000000042FC: D3D700E8 0A035160
	v_mfma_i32_16x16x32_i8 v[232:235], a[98:99], v[170:171], v[232:235]// 000000004304: D3D700E8 0FA35562
	buffer_load_dwordx4 a[16:19], v37, s[24:27], 0 offen       // 00000000430C: E05C1000 80861025
	v_mov_b32_e32 v46, 0x358637bd                              // 000000004314: 7E5C02FF 358637BD
	v_mov_b32_e32 v47, 0x358637bd                              // 00000000431C: 7E5E02FF 358637BD
	v_max3_f32 v46, |v200|, |v201|, v46                        // 000000004324: D1D3032E 04BB93C8
	v_max3_f32 v46, |v202|, |v203|, v46                        // 00000000432C: D1D3032E 04BB97CA
	v_max3_f32 v47, |v204|, |v205|, v47                        // 000000004334: D1D3032F 04BF9BCC
	v_max3_f32 v47, |v206|, |v207|, v47                        // 00000000433C: D1D3032F 04BF9FCE
	v_max3_f32 v46, |v208|, |v209|, v46                        // 000000004344: D1D3032E 04BBA3D0
	v_max3_f32 v46, |v210|, |v211|, v46                        // 00000000434C: D1D3032E 04BBA7D2
	v_max3_f32 v47, |v212|, |v213|, v47                        // 000000004354: D1D3032F 04BFABD4
	v_max3_f32 v47, |v214|, |v215|, v47                        // 00000000435C: D1D3032F 04BFAFD6
	v_max3_f32 v46, |v216|, |v217|, v46                        // 000000004364: D1D3032E 04BBB3D8
	v_max3_f32 v46, |v218|, |v219|, v46                        // 00000000436C: D1D3032E 04BBB7DA
	v_max3_f32 v47, |v220|, |v221|, v47                        // 000000004374: D1D3032F 04BFBBDC
	v_max3_f32 v47, |v222|, |v223|, v47                        // 00000000437C: D1D3032F 04BFBFDE
	v_max3_f32 v46, |v224|, |v225|, v46                        // 000000004384: D1D3032E 04BBC3E0
	v_max3_f32 v46, |v226|, |v227|, v46                        // 00000000438C: D1D3032E 04BBC7E2
	v_max3_f32 v47, |v228|, |v229|, v47                        // 000000004394: D1D3032F 04BFCBE4
	v_max3_f32 v47, |v230|, |v231|, v47                        // 00000000439C: D1D3032F 04BFCFE6
	v_mfma_i32_16x16x32_i8 v[232:235], a[100:101], v[172:173], v[232:235]// 0000000043A4: D3D700E8 0FA35964
	ds_write_b64 v3, v[46:47]                                  // 0000000043AC: D89A0000 00002E03
	v_mfma_i32_16x16x32_i8 v[232:235], a[102:103], v[174:175], v[232:235]// 0000000043B4: D3D700E8 0FA35D66
	v_mfma_i32_16x16x32_i8 v[232:235], a[104:105], v[176:177], v[232:235]// 0000000043BC: D3D700E8 0FA36168
	v_mfma_i32_16x16x32_i8 v[232:235], a[106:107], v[178:179], v[232:235]// 0000000043C4: D3D700E8 0FA3656A
	buffer_load_dwordx4 a[20:23], v37, s[24:27], 0 offen offset:1024// 0000000043CC: E05C1400 80861425
	s_waitcnt lgkmcnt(0)                                       // 0000000043D4: BF8CC07F
	s_barrier                                                  // 0000000043D8: BF8A0000
	v_mfma_i32_16x16x32_i8 v[232:235], a[108:109], v[180:181], v[232:235]// 0000000043DC: D3D700E8 0FA3696C
	ds_read_b64 v[46:47], v4                                   // 0000000043E4: D8EC0000 2E000004
	ds_read_b64 v[48:49], v4 offset:128                        // 0000000043EC: D8EC0080 30000004
	v_mfma_i32_16x16x32_i8 v[232:235], a[110:111], v[182:183], v[232:235]// 0000000043F4: D3D700E8 0FA36D6E
	v_cvt_f32_i32_e32 v236, v236                               // 0000000043FC: 7FD80BEC
	v_cvt_f32_i32_e32 v237, v237                               // 000000004400: 7FDA0BED
	v_cvt_f32_i32_e32 v238, v238                               // 000000004404: 7FDC0BEE
	v_cvt_f32_i32_e32 v239, v239                               // 000000004408: 7FDE0BEF
	v_pk_fma_f32 v[68:69], v[236:237], v[242:243], v[68:69]    // 00000000440C: D3B04044 1D13E5EC
	v_pk_fma_f32 v[70:71], v[238:239], v[242:243], v[70:71]    // 000000004414: D3B04046 1D1BE5EE
	v_mfma_i32_16x16x32_i8 v[236:239], a[96:97], v[184:185], 0 // 00000000441C: D3D700EC 0A037160
	ds_read_b64 v[50:51], v4 offset:256                        // 000000004424: D8EC0100 32000004
	ds_read_b64 v[52:53], v4 offset:384                        // 00000000442C: D8EC0180 34000004
	v_mfma_i32_16x16x32_i8 v[236:239], a[98:99], v[186:187], v[236:239]// 000000004434: D3D700EC 0FB37562
	buffer_load_dwordx4 a[24:27], v37, s[24:27], 0 offen offset:2048// 00000000443C: E05C1800 80861825
	v_mfma_i32_16x16x32_i8 v[236:239], a[100:101], v[188:189], v[236:239]// 000000004444: D3D700EC 0FB37964
	ds_read_b64 v[54:55], v4 offset:512                        // 00000000444C: D8EC0200 36000004
	ds_read_b64 v[56:57], v4 offset:640                        // 000000004454: D8EC0280 38000004
	v_mfma_i32_16x16x32_i8 v[236:239], a[102:103], v[190:191], v[236:239]// 00000000445C: D3D700EC 0FB37D66
	v_mfma_i32_16x16x32_i8 v[236:239], a[104:105], v[192:193], v[236:239]// 000000004464: D3D700EC 0FB38168
	ds_read_b64 v[58:59], v4 offset:768                        // 00000000446C: D8EC0300 3A000004
	ds_read_b64 v[60:61], v4 offset:896                        // 000000004474: D8EC0380 3C000004
	v_mfma_i32_16x16x32_i8 v[236:239], a[106:107], v[194:195], v[236:239]// 00000000447C: D3D700EC 0FB3856A
	buffer_load_dwordx4 a[28:31], v37, s[24:27], 0 offen offset:3072// 000000004484: E05C1C00 80861C25
	v_mfma_i32_16x16x32_i8 v[236:239], a[108:109], v[196:197], v[236:239]// 00000000448C: D3D700EC 0FB3896C
	v_mfma_i32_16x16x32_i8 v[236:239], a[110:111], v[198:199], v[236:239]// 000000004494: D3D700EC 0FB38D6E
	v_cvt_f32_i32_e32 v232, v232                               // 00000000449C: 7FD00BE8
	v_cvt_f32_i32_e32 v233, v233                               // 0000000044A0: 7FD20BE9
	v_cvt_f32_i32_e32 v234, v234                               // 0000000044A4: 7FD40BEA
	v_cvt_f32_i32_e32 v235, v235                               // 0000000044A8: 7FD60BEB
	v_pk_fma_f32 v[72:73], v[232:233], v[240:241], v[72:73]    // 0000000044AC: D3B04048 1D23E1E8
	v_pk_fma_f32 v[74:75], v[234:235], v[240:241], v[74:75]    // 0000000044B4: D3B0404A 1D2BE1EA
	s_waitcnt vmcnt(16)                                        // 0000000044BC: BF8C4F70
	v_mfma_i32_16x16x32_i8 v[232:235], a[112:113], v[168:169], 0// 0000000044C0: D3D700E8 0A035170
	v_mfma_i32_16x16x32_i8 v[232:235], a[114:115], v[170:171], v[232:235]// 0000000044C8: D3D700E8 0FA35572
	buffer_load_dwordx4 a[32:35], v38, s[24:27], 0 offen       // 0000000044D0: E05C1000 80862026
	s_waitcnt lgkmcnt(0)                                       // 0000000044D8: BF8CC07F
	v_mov_b32_e32 v22, 0x358637bd                              // 0000000044DC: 7E2C02FF 358637BD
	v_mov_b32_e32 v23, 0x358637bd                              // 0000000044E4: 7E2E02FF 358637BD
	v_max3_f32 v22, |v46|, |v48|, v22                          // 0000000044EC: D1D30316 045A612E
	v_max3_f32 v23, |v47|, |v49|, v23                          // 0000000044F4: D1D30317 045E632F
	v_max3_f32 v22, |v50|, |v52|, v22                          // 0000000044FC: D1D30316 045A6932
	v_max3_f32 v23, |v51|, |v53|, v23                          // 000000004504: D1D30317 045E6B33
	v_max3_f32 v22, |v54|, |v56|, v22                          // 00000000450C: D1D30316 045A7136
	v_max3_f32 v23, |v55|, |v57|, v23                          // 000000004514: D1D30317 045E7337
	v_max3_f32 v22, |v58|, |v60|, v22                          // 00000000451C: D1D30316 045A793A
	v_max3_f32 v23, |v59|, |v61|, v23                          // 000000004524: D1D30317 045E7B3B
	v_mfma_i32_16x16x32_i8 v[232:235], a[116:117], v[172:173], v[232:235]// 00000000452C: D3D700E8 0FA35974
	ds_read_b64 v[46:47], v4 offset:1024                       // 000000004534: D8EC0400 2E000004
	ds_read_b64 v[48:49], v4 offset:1152                       // 00000000453C: D8EC0480 30000004
	v_mfma_i32_16x16x32_i8 v[232:235], a[118:119], v[174:175], v[232:235]// 000000004544: D3D700E8 0FA35D76
	v_mfma_i32_16x16x32_i8 v[232:235], a[120:121], v[176:177], v[232:235]// 00000000454C: D3D700E8 0FA36178
	ds_read_b64 v[50:51], v4 offset:1280                       // 000000004554: D8EC0500 32000004
	ds_read_b64 v[52:53], v4 offset:1408                       // 00000000455C: D8EC0580 34000004
	v_mfma_i32_16x16x32_i8 v[232:235], a[122:123], v[178:179], v[232:235]// 000000004564: D3D700E8 0FA3657A
	buffer_load_dwordx4 a[36:39], v38, s[24:27], 0 offen offset:1024// 00000000456C: E05C1400 80862426
	v_mfma_i32_16x16x32_i8 v[232:235], a[124:125], v[180:181], v[232:235]// 000000004574: D3D700E8 0FA3697C
	ds_read_b64 v[54:55], v4 offset:1536                       // 00000000457C: D8EC0600 36000004
	ds_read_b64 v[56:57], v4 offset:1664                       // 000000004584: D8EC0680 38000004
	v_mfma_i32_16x16x32_i8 v[232:235], a[126:127], v[182:183], v[232:235]// 00000000458C: D3D700E8 0FA36D7E
	v_cvt_f32_i32_e32 v236, v236                               // 000000004594: 7FD80BEC
	v_cvt_f32_i32_e32 v237, v237                               // 000000004598: 7FDA0BED
	v_cvt_f32_i32_e32 v238, v238                               // 00000000459C: 7FDC0BEE
	v_cvt_f32_i32_e32 v239, v239                               // 0000000045A0: 7FDE0BEF
	v_pk_fma_f32 v[76:77], v[236:237], v[242:243], v[76:77]    // 0000000045A4: D3B0404C 1D33E5EC
	v_pk_fma_f32 v[78:79], v[238:239], v[242:243], v[78:79]    // 0000000045AC: D3B0404E 1D3BE5EE
	v_mfma_i32_16x16x32_i8 v[236:239], a[112:113], v[184:185], 0// 0000000045B4: D3D700EC 0A037170
	ds_read_b64 v[58:59], v4 offset:1792                       // 0000000045BC: D8EC0700 3A000004
	ds_read_b64 v[60:61], v4 offset:1920                       // 0000000045C4: D8EC0780 3C000004
	v_mfma_i32_16x16x32_i8 v[236:239], a[114:115], v[186:187], v[236:239]// 0000000045CC: D3D700EC 0FB37572
	buffer_load_dwordx4 a[40:43], v38, s[24:27], 0 offen offset:2048// 0000000045D4: E05C1800 80862826
	v_mfma_i32_16x16x32_i8 v[236:239], a[116:117], v[188:189], v[236:239]// 0000000045DC: D3D700EC 0FB37974
	v_mfma_i32_16x16x32_i8 v[236:239], a[118:119], v[190:191], v[236:239]// 0000000045E4: D3D700EC 0FB37D76
	v_mfma_i32_16x16x32_i8 v[236:239], a[120:121], v[192:193], v[236:239]// 0000000045EC: D3D700EC 0FB38178
	v_mfma_i32_16x16x32_i8 v[236:239], a[122:123], v[194:195], v[236:239]// 0000000045F4: D3D700EC 0FB3857A
	buffer_load_dwordx4 a[44:47], v38, s[24:27], 0 offen offset:3072// 0000000045FC: E05C1C00 80862C26
	s_waitcnt lgkmcnt(0)                                       // 000000004604: BF8CC07F
	v_max3_f32 v22, |v46|, |v48|, v22                          // 000000004608: D1D30316 045A612E
	v_max3_f32 v23, |v47|, |v49|, v23                          // 000000004610: D1D30317 045E632F
	v_max3_f32 v22, |v50|, |v52|, v22                          // 000000004618: D1D30316 045A6932
	v_max3_f32 v23, |v51|, |v53|, v23                          // 000000004620: D1D30317 045E6B33
	v_max3_f32 v22, |v54|, |v56|, v22                          // 000000004628: D1D30316 045A7136
	v_max3_f32 v23, |v55|, |v57|, v23                          // 000000004630: D1D30317 045E7337
	v_max3_f32 v22, |v58|, |v60|, v22                          // 000000004638: D1D30316 045A793A
	v_max3_f32 v23, |v59|, |v61|, v23                          // 000000004640: D1D30317 045E7B3B
	v_mov_b32_e32 v42, 0x42fe0000                              // 000000004648: 7E5402FF 42FE0000
	v_rcp_f32_e32 v22, v22                                     // 000000004650: 7E2C4516
	v_rcp_f32_e32 v23, v23                                     // 000000004654: 7E2E4517
	s_nop 1                                                    // 000000004658: BF800001
	v_mul_f32_e32 v22, v42, v22                                // 00000000465C: 0A2C2D2A
	v_mul_f32_e32 v23, v42, v23                                // 000000004660: 0A2E2F2A
	v_rcp_f32_e32 v26, v22                                     // 000000004664: 7E344516
	v_rcp_f32_e32 v27, v23                                     // 000000004668: 7E364517
	v_mov_b32_e32 v42, v22                                     // 00000000466C: 7E540316
	v_mov_b32_e32 v43, v22                                     // 000000004670: 7E560316
	v_mov_b32_e32 v44, v23                                     // 000000004674: 7E580317
	v_mov_b32_e32 v45, v23                                     // 000000004678: 7E5A0317
	v_pk_mul_f32 v[200:201], v[42:43], v[200:201]              // 00000000467C: D3B140C8 1803912A
	v_pk_mul_f32 v[202:203], v[42:43], v[202:203]              // 000000004684: D3B140CA 1803952A
	v_cvt_i32_f32_e32 v200, v200                               // 00000000468C: 7F9011C8
	v_cvt_i32_f32_e32 v201, v201                               // 000000004690: 7F9211C9
	v_cvt_i32_f32_e32 v202, v202                               // 000000004694: 7F9411CA
	v_cvt_i32_f32_e32 v203, v203                               // 000000004698: 7F9611CB
	v_perm_b32 v200, v201, v200, s53                           // 00000000469C: D1ED00C8 00D791C9
	v_perm_b32 v200, v202, v200, s54                           // 0000000046A4: D1ED00C8 00DB91CA
	v_perm_b32 v200, v203, v200, s55                           // 0000000046AC: D1ED00C8 00DF91CB
	v_pk_mul_f32 v[204:205], v[44:45], v[204:205]              // 0000000046B4: D3B140CC 1803992C
	v_pk_mul_f32 v[206:207], v[44:45], v[206:207]              // 0000000046BC: D3B140CE 18039D2C
	v_cvt_i32_f32_e32 v204, v204                               // 0000000046C4: 7F9811CC
	v_cvt_i32_f32_e32 v205, v205                               // 0000000046C8: 7F9A11CD
	v_cvt_i32_f32_e32 v206, v206                               // 0000000046CC: 7F9C11CE
	v_cvt_i32_f32_e32 v207, v207                               // 0000000046D0: 7F9E11CF
	v_perm_b32 v201, v205, v204, s53                           // 0000000046D4: D1ED00C9 00D799CD
	v_perm_b32 v201, v206, v201, s54                           // 0000000046DC: D1ED00C9 00DB93CE
	v_perm_b32 v201, v207, v201, s55                           // 0000000046E4: D1ED00C9 00DF93CF
	v_pk_mul_f32 v[208:209], v[42:43], v[208:209]              // 0000000046EC: D3B140D0 1803A12A
	v_pk_mul_f32 v[210:211], v[42:43], v[210:211]              // 0000000046F4: D3B140D2 1803A52A
	v_cvt_i32_f32_e32 v208, v208                               // 0000000046FC: 7FA011D0
	v_cvt_i32_f32_e32 v209, v209                               // 000000004700: 7FA211D1
	v_cvt_i32_f32_e32 v210, v210                               // 000000004704: 7FA411D2
	v_cvt_i32_f32_e32 v211, v211                               // 000000004708: 7FA611D3
	v_perm_b32 v202, v209, v208, s53                           // 00000000470C: D1ED00CA 00D7A1D1
	v_perm_b32 v202, v210, v202, s54                           // 000000004714: D1ED00CA 00DB95D2
	v_perm_b32 v202, v211, v202, s55                           // 00000000471C: D1ED00CA 00DF95D3
	v_pk_mul_f32 v[212:213], v[44:45], v[212:213]              // 000000004724: D3B140D4 1803A92C
	v_pk_mul_f32 v[214:215], v[44:45], v[214:215]              // 00000000472C: D3B140D6 1803AD2C
	v_cvt_i32_f32_e32 v212, v212                               // 000000004734: 7FA811D4
	v_cvt_i32_f32_e32 v213, v213                               // 000000004738: 7FAA11D5
	v_cvt_i32_f32_e32 v214, v214                               // 00000000473C: 7FAC11D6
	v_cvt_i32_f32_e32 v215, v215                               // 000000004740: 7FAE11D7
	v_perm_b32 v203, v213, v212, s53                           // 000000004744: D1ED00CB 00D7A9D5
	v_perm_b32 v203, v214, v203, s54                           // 00000000474C: D1ED00CB 00DB97D6
	v_perm_b32 v203, v215, v203, s55                           // 000000004754: D1ED00CB 00DF97D7
	v_pk_mul_f32 v[216:217], v[42:43], v[216:217]              // 00000000475C: D3B140D8 1803B12A
	v_pk_mul_f32 v[218:219], v[42:43], v[218:219]              // 000000004764: D3B140DA 1803B52A
	v_cvt_i32_f32_e32 v216, v216                               // 00000000476C: 7FB011D8
	v_cvt_i32_f32_e32 v217, v217                               // 000000004770: 7FB211D9
	v_cvt_i32_f32_e32 v218, v218                               // 000000004774: 7FB411DA
	v_cvt_i32_f32_e32 v219, v219                               // 000000004778: 7FB611DB
	v_perm_b32 v204, v217, v216, s53                           // 00000000477C: D1ED00CC 00D7B1D9
	v_perm_b32 v204, v218, v204, s54                           // 000000004784: D1ED00CC 00DB99DA
	v_perm_b32 v204, v219, v204, s55                           // 00000000478C: D1ED00CC 00DF99DB
	v_pk_mul_f32 v[220:221], v[44:45], v[220:221]              // 000000004794: D3B140DC 1803B92C
	v_pk_mul_f32 v[222:223], v[44:45], v[222:223]              // 00000000479C: D3B140DE 1803BD2C
	v_cvt_i32_f32_e32 v220, v220                               // 0000000047A4: 7FB811DC
	v_cvt_i32_f32_e32 v221, v221                               // 0000000047A8: 7FBA11DD
	v_cvt_i32_f32_e32 v222, v222                               // 0000000047AC: 7FBC11DE
	v_cvt_i32_f32_e32 v223, v223                               // 0000000047B0: 7FBE11DF
	v_perm_b32 v205, v221, v220, s53                           // 0000000047B4: D1ED00CD 00D7B9DD
	v_perm_b32 v205, v222, v205, s54                           // 0000000047BC: D1ED00CD 00DB9BDE
	v_perm_b32 v205, v223, v205, s55                           // 0000000047C4: D1ED00CD 00DF9BDF
	v_pk_mul_f32 v[224:225], v[42:43], v[224:225]              // 0000000047CC: D3B140E0 1803C12A
	v_pk_mul_f32 v[226:227], v[42:43], v[226:227]              // 0000000047D4: D3B140E2 1803C52A
	v_cvt_i32_f32_e32 v224, v224                               // 0000000047DC: 7FC011E0
	v_cvt_i32_f32_e32 v225, v225                               // 0000000047E0: 7FC211E1
	v_cvt_i32_f32_e32 v226, v226                               // 0000000047E4: 7FC411E2
	v_cvt_i32_f32_e32 v227, v227                               // 0000000047E8: 7FC611E3
	v_perm_b32 v206, v225, v224, s53                           // 0000000047EC: D1ED00CE 00D7C1E1
	v_perm_b32 v206, v226, v206, s54                           // 0000000047F4: D1ED00CE 00DB9DE2
	v_perm_b32 v206, v227, v206, s55                           // 0000000047FC: D1ED00CE 00DF9DE3
	v_pk_mul_f32 v[228:229], v[44:45], v[228:229]              // 000000004804: D3B140E4 1803C92C
	v_pk_mul_f32 v[230:231], v[44:45], v[230:231]              // 00000000480C: D3B140E6 1803CD2C
	v_cvt_i32_f32_e32 v228, v228                               // 000000004814: 7FC811E4
	v_cvt_i32_f32_e32 v229, v229                               // 000000004818: 7FCA11E5
	v_cvt_i32_f32_e32 v230, v230                               // 00000000481C: 7FCC11E6
	v_cvt_i32_f32_e32 v231, v231                               // 000000004820: 7FCE11E7
	v_perm_b32 v207, v229, v228, s53                           // 000000004824: D1ED00CF 00D7C9E5
	v_perm_b32 v207, v230, v207, s54                           // 00000000482C: D1ED00CF 00DB9FE6
	v_perm_b32 v207, v231, v207, s55                           // 000000004834: D1ED00CF 00DF9FE7
	v_mfma_i32_16x16x32_i8 v[236:239], a[124:125], v[196:197], v[236:239]// 00000000483C: D3D700EC 0FB3897C
	ds_write_b32 v12, v200 offset:2048                         // 000000004844: D81A0800 0000C80C
	ds_write_b32 v12, v201 offset:6144                         // 00000000484C: D81A1800 0000C90C
	v_mfma_i32_16x16x32_i8 v[236:239], a[126:127], v[198:199], v[236:239]// 000000004854: D3D700EC 0FB38D7E
	v_cvt_f32_i32_e32 v232, v232                               // 00000000485C: 7FD00BE8
	v_cvt_f32_i32_e32 v233, v233                               // 000000004860: 7FD20BE9
	v_cvt_f32_i32_e32 v234, v234                               // 000000004864: 7FD40BEA
	v_cvt_f32_i32_e32 v235, v235                               // 000000004868: 7FD60BEB
	v_pk_fma_f32 v[80:81], v[232:233], v[240:241], v[80:81]    // 00000000486C: D3B04050 1D43E1E8
	v_pk_fma_f32 v[82:83], v[234:235], v[240:241], v[82:83]    // 000000004874: D3B04052 1D4BE1EA
	s_waitcnt vmcnt(16)                                        // 00000000487C: BF8C4F70
	v_mfma_i32_16x16x32_i8 v[232:235], a[128:129], v[168:169], 0// 000000004880: D3D700E8 0A035180
	ds_write_b32 v12, v202 offset:3072                         // 000000004888: D81A0C00 0000CA0C
	ds_write_b32 v12, v203 offset:7168                         // 000000004890: D81A1C00 0000CB0C
	v_mfma_i32_16x16x32_i8 v[232:235], a[130:131], v[170:171], v[232:235]// 000000004898: D3D700E8 0FA35582
	buffer_load_dwordx4 a[48:51], v39, s[24:27], 0 offen       // 0000000048A0: E05C1000 80863027
	v_mfma_i32_16x16x32_i8 v[232:235], a[132:133], v[172:173], v[232:235]// 0000000048A8: D3D700E8 0FA35984
	ds_write_b32 v12, v204 offset:4096                         // 0000000048B0: D81A1000 0000CC0C
	ds_write_b32 v12, v205 offset:8192                         // 0000000048B8: D81A2000 0000CD0C
	v_mfma_i32_16x16x32_i8 v[232:235], a[134:135], v[174:175], v[232:235]// 0000000048C0: D3D700E8 0FA35D86
	v_mfma_i32_16x16x32_i8 v[232:235], a[136:137], v[176:177], v[232:235]// 0000000048C8: D3D700E8 0FA36188
	ds_write_b32 v12, v206 offset:5120                         // 0000000048D0: D81A1400 0000CE0C
	ds_write_b32 v12, v207 offset:9216                         // 0000000048D8: D81A2400 0000CF0C
	v_mfma_i32_16x16x32_i8 v[232:235], a[138:139], v[178:179], v[232:235]// 0000000048E0: D3D700E8 0FA3658A
	buffer_load_dwordx4 a[52:55], v39, s[24:27], 0 offen offset:1024// 0000000048E8: E05C1400 80863427
	v_mfma_i32_16x16x32_i8 v[232:235], a[140:141], v[180:181], v[232:235]// 0000000048F0: D3D700E8 0FA3698C
	v_mfma_i32_16x16x32_i8 v[232:235], a[142:143], v[182:183], v[232:235]// 0000000048F8: D3D700E8 0FA36D8E
	v_cvt_f32_i32_e32 v236, v236                               // 000000004900: 7FD80BEC
	v_cvt_f32_i32_e32 v237, v237                               // 000000004904: 7FDA0BED
	v_cvt_f32_i32_e32 v238, v238                               // 000000004908: 7FDC0BEE
	v_cvt_f32_i32_e32 v239, v239                               // 00000000490C: 7FDE0BEF
	v_pk_fma_f32 v[84:85], v[236:237], v[242:243], v[84:85]    // 000000004910: D3B04054 1D53E5EC
	v_pk_fma_f32 v[86:87], v[238:239], v[242:243], v[86:87]    // 000000004918: D3B04056 1D5BE5EE
	v_mfma_i32_16x16x32_i8 v[236:239], a[128:129], v[184:185], 0// 000000004920: D3D700EC 0A037180
	v_mfma_i32_16x16x32_i8 v[236:239], a[130:131], v[186:187], v[236:239]// 000000004928: D3D700EC 0FB37582
	buffer_load_dwordx4 a[56:59], v39, s[24:27], 0 offen offset:2048// 000000004930: E05C1800 80863827
	v_mfma_i32_16x16x32_i8 v[236:239], a[132:133], v[188:189], v[236:239]// 000000004938: D3D700EC 0FB37984
	v_mfma_i32_16x16x32_i8 v[236:239], a[134:135], v[190:191], v[236:239]// 000000004940: D3D700EC 0FB37D86
	s_waitcnt lgkmcnt(0)                                       // 000000004948: BF8CC07F
	s_barrier                                                  // 00000000494C: BF8A0000
	v_mfma_i32_16x16x32_i8 v[236:239], a[136:137], v[192:193], v[236:239]// 000000004950: D3D700EC 0FB38188
	ds_read_b64 v[200:201], v13 offset:2048                    // 000000004958: D8EC0800 C800000D
	ds_read_b64 v[202:203], v13 offset:2176                    // 000000004960: D8EC0880 CA00000D
	v_mfma_i32_16x16x32_i8 v[236:239], a[138:139], v[194:195], v[236:239]// 000000004968: D3D700EC 0FB3858A
	buffer_load_dwordx4 a[60:63], v39, s[24:27], 0 offen offset:3072// 000000004970: E05C1C00 80863C27
	v_mfma_i32_16x16x32_i8 v[236:239], a[140:141], v[196:197], v[236:239]// 000000004978: D3D700EC 0FB3898C
	ds_read_b64 v[204:205], v13 offset:3072                    // 000000004980: D8EC0C00 CC00000D
	ds_read_b64 v[206:207], v13 offset:3200                    // 000000004988: D8EC0C80 CE00000D
	v_mfma_i32_16x16x32_i8 v[236:239], a[142:143], v[198:199], v[236:239]// 000000004990: D3D700EC 0FB38D8E
	v_cvt_f32_i32_e32 v232, v232                               // 000000004998: 7FD00BE8
	v_cvt_f32_i32_e32 v233, v233                               // 00000000499C: 7FD20BE9
	v_cvt_f32_i32_e32 v234, v234                               // 0000000049A0: 7FD40BEA
	v_cvt_f32_i32_e32 v235, v235                               // 0000000049A4: 7FD60BEB
	v_pk_fma_f32 v[88:89], v[232:233], v[240:241], v[88:89]    // 0000000049A8: D3B04058 1D63E1E8
	v_pk_fma_f32 v[90:91], v[234:235], v[240:241], v[90:91]    // 0000000049B0: D3B0405A 1D6BE1EA
	s_waitcnt vmcnt(16)                                        // 0000000049B8: BF8C4F70
	v_mfma_i32_16x16x32_i8 v[232:235], a[144:145], v[168:169], 0// 0000000049BC: D3D700E8 0A035190
	ds_read_b64 v[208:209], v13 offset:4096                    // 0000000049C4: D8EC1000 D000000D
	ds_read_b64 v[210:211], v13 offset:4224                    // 0000000049CC: D8EC1080 D200000D
	v_mfma_i32_16x16x32_i8 v[232:235], a[146:147], v[170:171], v[232:235]// 0000000049D4: D3D700E8 0FA35592
	buffer_load_dwordx4 a[64:67], v40, s[24:27], 0 offen       // 0000000049DC: E05C1000 80864028
	v_mfma_i32_16x16x32_i8 v[232:235], a[148:149], v[172:173], v[232:235]// 0000000049E4: D3D700E8 0FA35994
	ds_read_b64 v[212:213], v13 offset:5120                    // 0000000049EC: D8EC1400 D400000D
	ds_read_b64 v[214:215], v13 offset:5248                    // 0000000049F4: D8EC1480 D600000D
	v_mfma_i32_16x16x32_i8 v[232:235], a[150:151], v[174:175], v[232:235]// 0000000049FC: D3D700E8 0FA35D96
	v_mfma_i32_16x16x32_i8 v[232:235], a[152:153], v[176:177], v[232:235]// 000000004A04: D3D700E8 0FA36198
	ds_read_b64 v[216:217], v13 offset:6144                    // 000000004A0C: D8EC1800 D800000D
	ds_read_b64 v[218:219], v13 offset:6272                    // 000000004A14: D8EC1880 DA00000D
	v_mfma_i32_16x16x32_i8 v[232:235], a[154:155], v[178:179], v[232:235]// 000000004A1C: D3D700E8 0FA3659A
	buffer_load_dwordx4 a[68:71], v40, s[24:27], 0 offen offset:1024// 000000004A24: E05C1400 80864428
	v_mfma_i32_16x16x32_i8 v[232:235], a[156:157], v[180:181], v[232:235]// 000000004A2C: D3D700E8 0FA3699C
	ds_read_b64 v[220:221], v13 offset:7168                    // 000000004A34: D8EC1C00 DC00000D
	ds_read_b64 v[222:223], v13 offset:7296                    // 000000004A3C: D8EC1C80 DE00000D
	v_mfma_i32_16x16x32_i8 v[232:235], a[158:159], v[182:183], v[232:235]// 000000004A44: D3D700E8 0FA36D9E
	v_cvt_f32_i32_e32 v236, v236                               // 000000004A4C: 7FD80BEC
	v_cvt_f32_i32_e32 v237, v237                               // 000000004A50: 7FDA0BED
	v_cvt_f32_i32_e32 v238, v238                               // 000000004A54: 7FDC0BEE
	v_cvt_f32_i32_e32 v239, v239                               // 000000004A58: 7FDE0BEF
	v_pk_fma_f32 v[92:93], v[236:237], v[242:243], v[92:93]    // 000000004A5C: D3B0405C 1D73E5EC
	v_pk_fma_f32 v[94:95], v[238:239], v[242:243], v[94:95]    // 000000004A64: D3B0405E 1D7BE5EE
	v_mfma_i32_16x16x32_i8 v[236:239], a[144:145], v[184:185], 0// 000000004A6C: D3D700EC 0A037190
	ds_read_b64 v[224:225], v13 offset:8192                    // 000000004A74: D8EC2000 E000000D
	ds_read_b64 v[226:227], v13 offset:8320                    // 000000004A7C: D8EC2080 E200000D
	v_mfma_i32_16x16x32_i8 v[236:239], a[146:147], v[186:187], v[236:239]// 000000004A84: D3D700EC 0FB37592
	buffer_load_dwordx4 a[72:75], v40, s[24:27], 0 offen offset:2048// 000000004A8C: E05C1800 80864828
	v_mfma_i32_16x16x32_i8 v[236:239], a[148:149], v[188:189], v[236:239]// 000000004A94: D3D700EC 0FB37994
	ds_read_b64 v[228:229], v13 offset:9216                    // 000000004A9C: D8EC2400 E400000D
	ds_read_b64 v[230:231], v13 offset:9344                    // 000000004AA4: D8EC2480 E600000D
	v_mfma_i32_16x16x32_i8 v[236:239], a[150:151], v[190:191], v[236:239]// 000000004AAC: D3D700EC 0FB37D96
	v_mfma_i32_16x16x32_i8 v[236:239], a[152:153], v[192:193], v[236:239]// 000000004AB4: D3D700EC 0FB38198
	v_mfma_i32_16x16x32_i8 v[236:239], a[154:155], v[194:195], v[236:239]// 000000004ABC: D3D700EC 0FB3859A
	buffer_load_dwordx4 a[76:79], v40, s[24:27], 0 offen offset:3072// 000000004AC4: E05C1C00 80864C28
	v_mfma_i32_16x16x32_i8 v[236:239], a[156:157], v[196:197], v[236:239]// 000000004ACC: D3D700EC 0FB3899C
	v_mfma_i32_16x16x32_i8 v[236:239], a[158:159], v[198:199], v[236:239]// 000000004AD4: D3D700EC 0FB38D9E
	v_cvt_f32_i32_e32 v232, v232                               // 000000004ADC: 7FD00BE8
	v_cvt_f32_i32_e32 v233, v233                               // 000000004AE0: 7FD20BE9
	v_cvt_f32_i32_e32 v234, v234                               // 000000004AE4: 7FD40BEA
	v_cvt_f32_i32_e32 v235, v235                               // 000000004AE8: 7FD60BEB
	v_pk_fma_f32 v[96:97], v[232:233], v[240:241], v[96:97]    // 000000004AEC: D3B04060 1D83E1E8
	v_pk_fma_f32 v[98:99], v[234:235], v[240:241], v[98:99]    // 000000004AF4: D3B04062 1D8BE1EA
	v_cvt_f32_i32_e32 v236, v236                               // 000000004AFC: 7FD80BEC
	v_cvt_f32_i32_e32 v237, v237                               // 000000004B00: 7FDA0BED
	v_cvt_f32_i32_e32 v238, v238                               // 000000004B04: 7FDC0BEE
	v_cvt_f32_i32_e32 v239, v239                               // 000000004B08: 7FDE0BEF
	v_pk_fma_f32 v[100:101], v[236:237], v[242:243], v[100:101]// 000000004B0C: D3B04064 1D93E5EC
	v_pk_fma_f32 v[102:103], v[238:239], v[242:243], v[102:103]// 000000004B14: D3B04066 1D9BE5EE
	s_add_u32 s60, 0x200, s80                                  // 000000004B1C: 803C50FF 00000200
	s_cmp_lt_u32 s60, s81                                      // 000000004B24: BF0A513C
	s_cselect_b32 s57, s57, 0                                  // 000000004B28: 85398039
	s_cselect_b32 s91, s91, 0                                  // 000000004B2C: 855B805B
	s_add_u32 s60, 0x200, s80                                  // 000000004B30: 803C50FF 00000200
	s_cmp_lt_u32 s60, s81                                      // 000000004B38: BF0A513C
	s_cselect_b32 s58, s58, 0                                  // 000000004B3C: 853A803A
	s_add_u32 s20, s57, s20                                    // 000000004B40: 80141439
	s_addc_u32 s21, 0, s21                                     // 000000004B44: 82151580
	s_add_u32 s28, s91, s28                                    // 000000004B48: 801C1C5B
	s_addc_u32 s29, 0, s29                                     // 000000004B4C: 821D1D80
	s_add_u32 s24, s58, s24                                    // 000000004B50: 8018183A
	s_addc_u32 s25, 0, s25                                     // 000000004B54: 82191980
	s_add_u32 s92, s90, s92                                    // 000000004B58: 805C5C5A
	s_addc_u32 s93, 0, s93                                     // 000000004B5C: 825D5D80
	s_addk_i32 s80, 0x100                                      // 000000004B60: B7500100
	s_cmp_lt_i32 s80, s81                                      // 000000004B64: BF045150
	s_cbranch_scc0 label_0C3E                                  // 000000004B68: BF840423
	v_mov_b32_e32 v240, v26                                    // 000000004B6C: 7FE0031A
	v_mov_b32_e32 v242, v27                                    // 000000004B70: 7FE4031B
	v_mov_b32_e32 v241, v240                                   // 000000004B74: 7FE203F0
	v_mov_b32_e32 v243, v242                                   // 000000004B78: 7FE603F2
	s_waitcnt vmcnt(12) lgkmcnt(0)                             // 000000004B7C: BF8C007C
	s_barrier                                                  // 000000004B80: BF8A0000
	v_mfma_i32_16x16x32_i8 v[232:235], a[0:1], v[200:201], 0   // 000000004B84: D3D700E8 0A039100
	v_mfma_i32_16x16x32_i8 v[232:235], a[2:3], v[202:203], v[232:235]// 000000004B8C: D3D700E8 0FA39502
	buffer_load_dwordx4 a[80:83], v36, s[92:95], 0 offen       // 000000004B94: E05C1000 80975024
	v_mfma_i32_16x16x32_i8 v[232:235], a[4:5], v[204:205], v[232:235]// 000000004B9C: D3D700E8 0FA39904
	v_mfma_i32_16x16x32_i8 v[232:235], a[6:7], v[206:207], v[232:235]// 000000004BA4: D3D700E8 0FA39D06
	buffer_load_dword v28, s[20:23], 0 offen lds               // 000000004BAC: E0511000 8005001C
	buffer_load_dword v28, s[20:23], 0 offen offset:256 lds    // 000000004BB4: E0511100 8005001C
	s_add_u32 m0, 0x820, s50                                   // 000000004BBC: 807C32FF 00000820
	v_mfma_i32_16x16x32_i8 v[232:235], a[8:9], v[208:209], v[232:235]// 000000004BC4: D3D700E8 0FA3A108
	v_mfma_i32_16x16x32_i8 v[232:235], a[10:11], v[210:211], v[232:235]// 000000004BCC: D3D700E8 0FA3A50A
	buffer_load_dwordx4 a[84:87], v36, s[92:95], 0 offen offset:1024// 000000004BD4: E05C1400 80975424
	v_mfma_i32_16x16x32_i8 v[232:235], a[12:13], v[212:213], v[232:235]// 000000004BDC: D3D700E8 0FA3A90C
	v_mfma_i32_16x16x32_i8 v[232:235], a[14:15], v[214:215], v[232:235]// 000000004BE4: D3D700E8 0FA3AD0E
	buffer_load_dword v29, s[20:23], 0 offen lds               // 000000004BEC: E0511000 8005001D
	buffer_load_dword v29, s[20:23], 0 offen offset:256 lds    // 000000004BF4: E0511100 8005001D
	s_add_u32 m0, 0x1040, s50                                  // 000000004BFC: 807C32FF 00001040
	v_mfma_i32_16x16x32_i8 v[236:239], a[0:1], v[216:217], 0   // 000000004C04: D3D700EC 0A03B100
	v_mfma_i32_16x16x32_i8 v[236:239], a[2:3], v[218:219], v[236:239]// 000000004C0C: D3D700EC 0FB3B502
	buffer_load_dwordx4 a[88:91], v36, s[92:95], 0 offen offset:2048// 000000004C14: E05C1800 80975824
	v_mfma_i32_16x16x32_i8 v[236:239], a[4:5], v[220:221], v[236:239]// 000000004C1C: D3D700EC 0FB3B904
	v_mfma_i32_16x16x32_i8 v[236:239], a[6:7], v[222:223], v[236:239]// 000000004C24: D3D700EC 0FB3BD06
	buffer_load_dword v30, s[20:23], 0 offen lds               // 000000004C2C: E0511000 8005001E
	buffer_load_dword v30, s[20:23], 0 offen offset:256 lds    // 000000004C34: E0511100 8005001E
	s_add_u32 m0, 0x1860, s50                                  // 000000004C3C: 807C32FF 00001860
	v_mfma_i32_16x16x32_i8 v[236:239], a[8:9], v[224:225], v[236:239]// 000000004C44: D3D700EC 0FB3C108
	v_mfma_i32_16x16x32_i8 v[236:239], a[10:11], v[226:227], v[236:239]// 000000004C4C: D3D700EC 0FB3C50A
	buffer_load_dwordx4 a[92:95], v36, s[92:95], 0 offen offset:3072// 000000004C54: E05C1C00 80975C24
	v_mfma_i32_16x16x32_i8 v[236:239], a[12:13], v[228:229], v[236:239]// 000000004C5C: D3D700EC 0FB3C90C
	v_mfma_i32_16x16x32_i8 v[236:239], a[14:15], v[230:231], v[236:239]// 000000004C64: D3D700EC 0FB3CD0E
	buffer_load_dword v31, s[20:23], 0 offen lds               // 000000004C6C: E0511000 8005001F
	buffer_load_dword v31, s[20:23], 0 offen offset:256 lds    // 000000004C74: E0511100 8005001F
	s_add_u32 m0, 0x2080, s50                                  // 000000004C7C: 807C32FF 00002080
	v_cvt_f32_i32_e32 v232, v232                               // 000000004C84: 7FD00BE8
	v_cvt_f32_i32_e32 v233, v233                               // 000000004C88: 7FD20BE9
	v_cvt_f32_i32_e32 v234, v234                               // 000000004C8C: 7FD40BEA
	v_cvt_f32_i32_e32 v235, v235                               // 000000004C90: 7FD60BEB
	v_pk_fma_f32 v[128:129], v[232:233], v[240:241], v[128:129]// 000000004C94: D3B04080 1E03E1E8
	v_pk_fma_f32 v[130:131], v[234:235], v[240:241], v[130:131]// 000000004C9C: D3B04082 1E0BE1EA
	v_mfma_i32_16x16x32_i8 v[232:235], a[16:17], v[200:201], 0 // 000000004CA4: D3D700E8 0A039110
	v_mfma_i32_16x16x32_i8 v[232:235], a[18:19], v[202:203], v[232:235]// 000000004CAC: D3D700E8 0FA39512
	buffer_load_dwordx4 a[96:99], v37, s[92:95], 0 offen       // 000000004CB4: E05C1000 80976025
	v_mfma_i32_16x16x32_i8 v[232:235], a[20:21], v[204:205], v[232:235]// 000000004CBC: D3D700E8 0FA39914
	v_mfma_i32_16x16x32_i8 v[232:235], a[22:23], v[206:207], v[232:235]// 000000004CC4: D3D700E8 0FA39D16
	buffer_load_dword v32, s[20:23], 0 offen lds               // 000000004CCC: E0511000 80050020
	buffer_load_dword v32, s[20:23], 0 offen offset:256 lds    // 000000004CD4: E0511100 80050020
	s_add_u32 m0, 0x28a0, s50                                  // 000000004CDC: 807C32FF 000028A0
	v_mfma_i32_16x16x32_i8 v[232:235], a[24:25], v[208:209], v[232:235]// 000000004CE4: D3D700E8 0FA3A118
	v_mfma_i32_16x16x32_i8 v[232:235], a[26:27], v[210:211], v[232:235]// 000000004CEC: D3D700E8 0FA3A51A
	buffer_load_dwordx4 a[100:103], v37, s[92:95], 0 offen offset:1024// 000000004CF4: E05C1400 80976425
	v_mfma_i32_16x16x32_i8 v[232:235], a[28:29], v[212:213], v[232:235]// 000000004CFC: D3D700E8 0FA3A91C
	v_mfma_i32_16x16x32_i8 v[232:235], a[30:31], v[214:215], v[232:235]// 000000004D04: D3D700E8 0FA3AD1E
	buffer_load_dword v33, s[20:23], 0 offen lds               // 000000004D0C: E0511000 80050021
	buffer_load_dword v33, s[20:23], 0 offen offset:256 lds    // 000000004D14: E0511100 80050021
	s_add_u32 m0, 0x30c0, s50                                  // 000000004D1C: 807C32FF 000030C0
	v_cvt_f32_i32_e32 v236, v236                               // 000000004D24: 7FD80BEC
	v_cvt_f32_i32_e32 v237, v237                               // 000000004D28: 7FDA0BED
	v_cvt_f32_i32_e32 v238, v238                               // 000000004D2C: 7FDC0BEE
	v_cvt_f32_i32_e32 v239, v239                               // 000000004D30: 7FDE0BEF
	v_pk_fma_f32 v[132:133], v[236:237], v[242:243], v[132:133]// 000000004D34: D3B04084 1E13E5EC
	v_pk_fma_f32 v[134:135], v[238:239], v[242:243], v[134:135]// 000000004D3C: D3B04086 1E1BE5EE
	v_mfma_i32_16x16x32_i8 v[236:239], a[16:17], v[216:217], 0 // 000000004D44: D3D700EC 0A03B110
	v_mfma_i32_16x16x32_i8 v[236:239], a[18:19], v[218:219], v[236:239]// 000000004D4C: D3D700EC 0FB3B512
	buffer_load_dwordx4 a[104:107], v37, s[92:95], 0 offen offset:2048// 000000004D54: E05C1800 80976825
	v_mfma_i32_16x16x32_i8 v[236:239], a[20:21], v[220:221], v[236:239]// 000000004D5C: D3D700EC 0FB3B914
	v_mfma_i32_16x16x32_i8 v[236:239], a[22:23], v[222:223], v[236:239]// 000000004D64: D3D700EC 0FB3BD16
	buffer_load_dword v34, s[20:23], 0 offen lds               // 000000004D6C: E0511000 80050022
	buffer_load_dword v34, s[20:23], 0 offen offset:256 lds    // 000000004D74: E0511100 80050022
	s_add_u32 m0, 0x38e0, s50                                  // 000000004D7C: 807C32FF 000038E0
	v_mfma_i32_16x16x32_i8 v[236:239], a[24:25], v[224:225], v[236:239]// 000000004D84: D3D700EC 0FB3C118
	v_mfma_i32_16x16x32_i8 v[236:239], a[26:27], v[226:227], v[236:239]// 000000004D8C: D3D700EC 0FB3C51A
	buffer_load_dwordx4 a[108:111], v37, s[92:95], 0 offen offset:3072// 000000004D94: E05C1C00 80976C25
	v_mfma_i32_16x16x32_i8 v[236:239], a[28:29], v[228:229], v[236:239]// 000000004D9C: D3D700EC 0FB3C91C
	v_mfma_i32_16x16x32_i8 v[236:239], a[30:31], v[230:231], v[236:239]// 000000004DA4: D3D700EC 0FB3CD1E
	buffer_load_dword v35, s[20:23], 0 offen lds               // 000000004DAC: E0511000 80050023
	buffer_load_dword v35, s[20:23], 0 offen offset:256 lds    // 000000004DB4: E0511100 80050023
	s_add_u32 m0, 0, s51                                       // 000000004DBC: 807C3380
	buffer_load_dword v14, v6, s[28:31], 0 offen               // 000000004DC0: E0501000 80070E06
	v_cvt_f32_i32_e32 v232, v232                               // 000000004DC8: 7FD00BE8
	v_cvt_f32_i32_e32 v233, v233                               // 000000004DCC: 7FD20BE9
	v_cvt_f32_i32_e32 v234, v234                               // 000000004DD0: 7FD40BEA
	v_cvt_f32_i32_e32 v235, v235                               // 000000004DD4: 7FD60BEB
	v_pk_fma_f32 v[136:137], v[232:233], v[240:241], v[136:137]// 000000004DD8: D3B04088 1E23E1E8
	v_pk_fma_f32 v[138:139], v[234:235], v[240:241], v[138:139]// 000000004DE0: D3B0408A 1E2BE1EA
	s_waitcnt vmcnt(33)                                        // 000000004DE8: BF8C8F71
	v_mfma_i32_16x16x32_i8 v[232:235], a[32:33], v[200:201], 0 // 000000004DEC: D3D700E8 0A039120
	v_mfma_i32_16x16x32_i8 v[232:235], a[34:35], v[202:203], v[232:235]// 000000004DF4: D3D700E8 0FA39522
	buffer_load_dwordx4 a[112:115], v38, s[92:95], 0 offen     // 000000004DFC: E05C1000 80977026
	v_mfma_i32_16x16x32_i8 v[232:235], a[36:37], v[204:205], v[232:235]// 000000004E04: D3D700E8 0FA39924
	v_mfma_i32_16x16x32_i8 v[232:235], a[38:39], v[206:207], v[232:235]// 000000004E0C: D3D700E8 0FA39D26
	v_mfma_i32_16x16x32_i8 v[232:235], a[40:41], v[208:209], v[232:235]// 000000004E14: D3D700E8 0FA3A128
	v_mfma_i32_16x16x32_i8 v[232:235], a[42:43], v[210:211], v[232:235]// 000000004E1C: D3D700E8 0FA3A52A
	buffer_load_dwordx4 a[116:119], v38, s[92:95], 0 offen offset:1024// 000000004E24: E05C1400 80977426
	v_mfma_i32_16x16x32_i8 v[232:235], a[44:45], v[212:213], v[232:235]// 000000004E2C: D3D700E8 0FA3A92C
	v_mfma_i32_16x16x32_i8 v[232:235], a[46:47], v[214:215], v[232:235]// 000000004E34: D3D700E8 0FA3AD2E
	v_cvt_f32_i32_e32 v236, v236                               // 000000004E3C: 7FD80BEC
	v_cvt_f32_i32_e32 v237, v237                               // 000000004E40: 7FDA0BED
	v_cvt_f32_i32_e32 v238, v238                               // 000000004E44: 7FDC0BEE
	v_cvt_f32_i32_e32 v239, v239                               // 000000004E48: 7FDE0BEF
	v_pk_fma_f32 v[140:141], v[236:237], v[242:243], v[140:141]// 000000004E4C: D3B0408C 1E33E5EC
	v_pk_fma_f32 v[142:143], v[238:239], v[242:243], v[142:143]// 000000004E54: D3B0408E 1E3BE5EE
	v_mfma_i32_16x16x32_i8 v[236:239], a[32:33], v[216:217], 0 // 000000004E5C: D3D700EC 0A03B120
	v_mfma_i32_16x16x32_i8 v[236:239], a[34:35], v[218:219], v[236:239]// 000000004E64: D3D700EC 0FB3B522
	buffer_load_dwordx4 a[120:123], v38, s[92:95], 0 offen offset:2048// 000000004E6C: E05C1800 80977826
	v_mfma_i32_16x16x32_i8 v[236:239], a[36:37], v[220:221], v[236:239]// 000000004E74: D3D700EC 0FB3B924
	v_mfma_i32_16x16x32_i8 v[236:239], a[38:39], v[222:223], v[236:239]// 000000004E7C: D3D700EC 0FB3BD26
	v_mfma_i32_16x16x32_i8 v[236:239], a[40:41], v[224:225], v[236:239]// 000000004E84: D3D700EC 0FB3C128
	v_mfma_i32_16x16x32_i8 v[236:239], a[42:43], v[226:227], v[236:239]// 000000004E8C: D3D700EC 0FB3C52A
	buffer_load_dwordx4 a[124:127], v38, s[92:95], 0 offen offset:3072// 000000004E94: E05C1C00 80977C26
	v_mfma_i32_16x16x32_i8 v[236:239], a[44:45], v[228:229], v[236:239]// 000000004E9C: D3D700EC 0FB3C92C
	v_mfma_i32_16x16x32_i8 v[236:239], a[46:47], v[230:231], v[236:239]// 000000004EA4: D3D700EC 0FB3CD2E
	v_cvt_f32_i32_e32 v232, v232                               // 000000004EAC: 7FD00BE8
	v_cvt_f32_i32_e32 v233, v233                               // 000000004EB0: 7FD20BE9
	v_cvt_f32_i32_e32 v234, v234                               // 000000004EB4: 7FD40BEA
	v_cvt_f32_i32_e32 v235, v235                               // 000000004EB8: 7FD60BEB
	v_pk_fma_f32 v[144:145], v[232:233], v[240:241], v[144:145]// 000000004EBC: D3B04090 1E43E1E8
	v_pk_fma_f32 v[146:147], v[234:235], v[240:241], v[146:147]// 000000004EC4: D3B04092 1E4BE1EA
	s_waitcnt vmcnt(33)                                        // 000000004ECC: BF8C8F71
	v_mfma_i32_16x16x32_i8 v[232:235], a[48:49], v[200:201], 0 // 000000004ED0: D3D700E8 0A039130
	v_mfma_i32_16x16x32_i8 v[232:235], a[50:51], v[202:203], v[232:235]// 000000004ED8: D3D700E8 0FA39532
	buffer_load_dwordx4 a[128:131], v39, s[92:95], 0 offen     // 000000004EE0: E05C1000 80978027
	v_mfma_i32_16x16x32_i8 v[232:235], a[52:53], v[204:205], v[232:235]// 000000004EE8: D3D700E8 0FA39934
	v_mfma_i32_16x16x32_i8 v[232:235], a[54:55], v[206:207], v[232:235]// 000000004EF0: D3D700E8 0FA39D36
	v_mfma_i32_16x16x32_i8 v[232:235], a[56:57], v[208:209], v[232:235]// 000000004EF8: D3D700E8 0FA3A138
	v_mfma_i32_16x16x32_i8 v[232:235], a[58:59], v[210:211], v[232:235]// 000000004F00: D3D700E8 0FA3A53A
	buffer_load_dwordx4 a[132:135], v39, s[92:95], 0 offen offset:1024// 000000004F08: E05C1400 80978427
	v_mfma_i32_16x16x32_i8 v[232:235], a[60:61], v[212:213], v[232:235]// 000000004F10: D3D700E8 0FA3A93C
	v_mfma_i32_16x16x32_i8 v[232:235], a[62:63], v[214:215], v[232:235]// 000000004F18: D3D700E8 0FA3AD3E
	v_cvt_f32_i32_e32 v236, v236                               // 000000004F20: 7FD80BEC
	v_cvt_f32_i32_e32 v237, v237                               // 000000004F24: 7FDA0BED
	v_cvt_f32_i32_e32 v238, v238                               // 000000004F28: 7FDC0BEE
	v_cvt_f32_i32_e32 v239, v239                               // 000000004F2C: 7FDE0BEF
	v_pk_fma_f32 v[148:149], v[236:237], v[242:243], v[148:149]// 000000004F30: D3B04094 1E53E5EC
	v_pk_fma_f32 v[150:151], v[238:239], v[242:243], v[150:151]// 000000004F38: D3B04096 1E5BE5EE
	v_mfma_i32_16x16x32_i8 v[236:239], a[48:49], v[216:217], 0 // 000000004F40: D3D700EC 0A03B130
	v_mfma_i32_16x16x32_i8 v[236:239], a[50:51], v[218:219], v[236:239]// 000000004F48: D3D700EC 0FB3B532
	buffer_load_dwordx4 a[136:139], v39, s[92:95], 0 offen offset:2048// 000000004F50: E05C1800 80978827
	v_mfma_i32_16x16x32_i8 v[236:239], a[52:53], v[220:221], v[236:239]// 000000004F58: D3D700EC 0FB3B934
	v_mfma_i32_16x16x32_i8 v[236:239], a[54:55], v[222:223], v[236:239]// 000000004F60: D3D700EC 0FB3BD36
	v_mfma_i32_16x16x32_i8 v[236:239], a[56:57], v[224:225], v[236:239]// 000000004F68: D3D700EC 0FB3C138
	v_mfma_i32_16x16x32_i8 v[236:239], a[58:59], v[226:227], v[236:239]// 000000004F70: D3D700EC 0FB3C53A
	buffer_load_dwordx4 a[140:143], v39, s[92:95], 0 offen offset:3072// 000000004F78: E05C1C00 80978C27
	v_mfma_i32_16x16x32_i8 v[236:239], a[60:61], v[228:229], v[236:239]// 000000004F80: D3D700EC 0FB3C93C
	v_mfma_i32_16x16x32_i8 v[236:239], a[62:63], v[230:231], v[236:239]// 000000004F88: D3D700EC 0FB3CD3E
	v_cvt_f32_i32_e32 v232, v232                               // 000000004F90: 7FD00BE8
	v_cvt_f32_i32_e32 v233, v233                               // 000000004F94: 7FD20BE9
	v_cvt_f32_i32_e32 v234, v234                               // 000000004F98: 7FD40BEA
	v_cvt_f32_i32_e32 v235, v235                               // 000000004F9C: 7FD60BEB
	v_pk_fma_f32 v[152:153], v[232:233], v[240:241], v[152:153]// 000000004FA0: D3B04098 1E63E1E8
	v_pk_fma_f32 v[154:155], v[234:235], v[240:241], v[154:155]// 000000004FA8: D3B0409A 1E6BE1EA
	s_waitcnt vmcnt(33)                                        // 000000004FB0: BF8C8F71
	v_mfma_i32_16x16x32_i8 v[232:235], a[64:65], v[200:201], 0 // 000000004FB4: D3D700E8 0A039140
	v_mfma_i32_16x16x32_i8 v[232:235], a[66:67], v[202:203], v[232:235]// 000000004FBC: D3D700E8 0FA39542
	buffer_load_dwordx4 a[144:147], v40, s[92:95], 0 offen     // 000000004FC4: E05C1000 80979028
	v_mfma_i32_16x16x32_i8 v[232:235], a[68:69], v[204:205], v[232:235]// 000000004FCC: D3D700E8 0FA39944
	v_mfma_i32_16x16x32_i8 v[232:235], a[70:71], v[206:207], v[232:235]// 000000004FD4: D3D700E8 0FA39D46
	v_mfma_i32_16x16x32_i8 v[232:235], a[72:73], v[208:209], v[232:235]// 000000004FDC: D3D700E8 0FA3A148
	v_mfma_i32_16x16x32_i8 v[232:235], a[74:75], v[210:211], v[232:235]// 000000004FE4: D3D700E8 0FA3A54A
	buffer_load_dwordx4 a[148:151], v40, s[92:95], 0 offen offset:1024// 000000004FEC: E05C1400 80979428
	v_mfma_i32_16x16x32_i8 v[232:235], a[76:77], v[212:213], v[232:235]// 000000004FF4: D3D700E8 0FA3A94C
	v_mfma_i32_16x16x32_i8 v[232:235], a[78:79], v[214:215], v[232:235]// 000000004FFC: D3D700E8 0FA3AD4E
	v_cvt_f32_i32_e32 v236, v236                               // 000000005004: 7FD80BEC
	v_cvt_f32_i32_e32 v237, v237                               // 000000005008: 7FDA0BED
	v_cvt_f32_i32_e32 v238, v238                               // 00000000500C: 7FDC0BEE
	v_cvt_f32_i32_e32 v239, v239                               // 000000005010: 7FDE0BEF
	v_pk_fma_f32 v[156:157], v[236:237], v[242:243], v[156:157]// 000000005014: D3B0409C 1E73E5EC
	v_pk_fma_f32 v[158:159], v[238:239], v[242:243], v[158:159]// 00000000501C: D3B0409E 1E7BE5EE
	v_mfma_i32_16x16x32_i8 v[236:239], a[64:65], v[216:217], 0 // 000000005024: D3D700EC 0A03B140
	v_mfma_i32_16x16x32_i8 v[236:239], a[66:67], v[218:219], v[236:239]// 00000000502C: D3D700EC 0FB3B542
	buffer_load_dwordx4 a[152:155], v40, s[92:95], 0 offen offset:2048// 000000005034: E05C1800 80979828
	v_mfma_i32_16x16x32_i8 v[236:239], a[68:69], v[220:221], v[236:239]// 00000000503C: D3D700EC 0FB3B944
	v_mfma_i32_16x16x32_i8 v[236:239], a[70:71], v[222:223], v[236:239]// 000000005044: D3D700EC 0FB3BD46
	v_mfma_i32_16x16x32_i8 v[236:239], a[72:73], v[224:225], v[236:239]// 00000000504C: D3D700EC 0FB3C148
	v_mfma_i32_16x16x32_i8 v[236:239], a[74:75], v[226:227], v[236:239]// 000000005054: D3D700EC 0FB3C54A
	buffer_load_dwordx4 a[156:159], v40, s[92:95], 0 offen offset:3072// 00000000505C: E05C1C00 80979C28
	v_mfma_i32_16x16x32_i8 v[236:239], a[76:77], v[228:229], v[236:239]// 000000005064: D3D700EC 0FB3C94C
	v_mfma_i32_16x16x32_i8 v[236:239], a[78:79], v[230:231], v[236:239]// 00000000506C: D3D700EC 0FB3CD4E
	v_cvt_f32_i32_e32 v232, v232                               // 000000005074: 7FD00BE8
	v_cvt_f32_i32_e32 v233, v233                               // 000000005078: 7FD20BE9
	v_cvt_f32_i32_e32 v234, v234                               // 00000000507C: 7FD40BEA
	v_cvt_f32_i32_e32 v235, v235                               // 000000005080: 7FD60BEB
	v_pk_fma_f32 v[160:161], v[232:233], v[240:241], v[160:161]// 000000005084: D3B040A0 1E83E1E8
	v_pk_fma_f32 v[162:163], v[234:235], v[240:241], v[162:163]// 00000000508C: D3B040A2 1E8BE1EA
	v_cvt_f32_i32_e32 v236, v236                               // 000000005094: 7FD80BEC
	v_cvt_f32_i32_e32 v237, v237                               // 000000005098: 7FDA0BED
	v_cvt_f32_i32_e32 v238, v238                               // 00000000509C: 7FDC0BEE
	v_cvt_f32_i32_e32 v239, v239                               // 0000000050A0: 7FDE0BEF
	v_pk_fma_f32 v[164:165], v[236:237], v[242:243], v[164:165]// 0000000050A4: D3B040A4 1E93E5EC
	v_pk_fma_f32 v[166:167], v[238:239], v[242:243], v[166:167]// 0000000050AC: D3B040A6 1E9BE5EE
	s_waitcnt vmcnt(12)                                        // 0000000050B4: BF8C0F7C
	s_barrier                                                  // 0000000050B8: BF8A0000
	v_mfma_i32_16x16x32_i8 v[232:235], a[80:81], v[200:201], 0 // 0000000050BC: D3D700E8 0A039150
	ds_read_b64 v[168:169], v2 offset:2048                     // 0000000050C4: D8EC0800 A8000002
	ds_read_b64 v[172:173], v2 offset:10368                    // 0000000050CC: D8EC2880 AC000002
	v_mfma_i32_16x16x32_i8 v[232:235], a[82:83], v[202:203], v[232:235]// 0000000050D4: D3D700E8 0FA39552
	buffer_load_dwordx4 a[0:3], v36, s[24:27], 0 offen         // 0000000050DC: E05C1000 80860024
	v_mfma_i32_16x16x32_i8 v[232:235], a[84:85], v[204:205], v[232:235]// 0000000050E4: D3D700E8 0FA39954
	ds_read_b64 v[176:177], v2 offset:2176                     // 0000000050EC: D8EC0880 B0000002
	ds_read_b64 v[180:181], v2 offset:10496                    // 0000000050F4: D8EC2900 B4000002
	v_mfma_i32_16x16x32_i8 v[232:235], a[86:87], v[206:207], v[232:235]// 0000000050FC: D3D700E8 0FA39D56
	v_mfma_i32_16x16x32_i8 v[232:235], a[88:89], v[208:209], v[232:235]// 000000005104: D3D700E8 0FA3A158
	ds_read_b64 v[184:185], v2 offset:2304                     // 00000000510C: D8EC0900 B8000002
	ds_read_b64 v[188:189], v2 offset:10624                    // 000000005114: D8EC2980 BC000002
	v_mfma_i32_16x16x32_i8 v[232:235], a[90:91], v[210:211], v[232:235]// 00000000511C: D3D700E8 0FA3A55A
	buffer_load_dwordx4 a[4:7], v36, s[24:27], 0 offen offset:1024// 000000005124: E05C1400 80860424
	v_mfma_i32_16x16x32_i8 v[232:235], a[92:93], v[212:213], v[232:235]// 00000000512C: D3D700E8 0FA3A95C
	ds_read_b64 v[192:193], v2 offset:2432                     // 000000005134: D8EC0980 C0000002
	ds_read_b64 v[196:197], v2 offset:10752                    // 00000000513C: D8EC2A00 C4000002
	v_mfma_i32_16x16x32_i8 v[232:235], a[94:95], v[214:215], v[232:235]// 000000005144: D3D700E8 0FA3AD5E
	s_waitcnt lgkmcnt(4)                                       // 00000000514C: BF8CC47F
	v_and_b32_e32 v171, 0xffff0000, v169                       // 000000005150: 275752FF FFFF0000
	v_lshlrev_b32_e32 v170, 16, v169                           // 000000005158: 25555290
	v_and_b32_e32 v169, 0xffff0000, v168                       // 00000000515C: 275350FF FFFF0000
	v_lshlrev_b32_e32 v168, 16, v168                           // 000000005164: 25515090
	v_and_b32_e32 v175, 0xffff0000, v173                       // 000000005168: 275F5AFF FFFF0000
	v_lshlrev_b32_e32 v174, 16, v173                           // 000000005170: 255D5A90
	v_and_b32_e32 v173, 0xffff0000, v172                       // 000000005174: 275B58FF FFFF0000
	v_lshlrev_b32_e32 v172, 16, v172                           // 00000000517C: 25595890
	v_and_b32_e32 v179, 0xffff0000, v177                       // 000000005180: 276762FF FFFF0000
	v_lshlrev_b32_e32 v178, 16, v177                           // 000000005188: 25656290
	v_and_b32_e32 v177, 0xffff0000, v176                       // 00000000518C: 276360FF FFFF0000
	v_lshlrev_b32_e32 v176, 16, v176                           // 000000005194: 25616090
	v_and_b32_e32 v183, 0xffff0000, v181                       // 000000005198: 276F6AFF FFFF0000
	v_lshlrev_b32_e32 v182, 16, v181                           // 0000000051A0: 256D6A90
	v_and_b32_e32 v181, 0xffff0000, v180                       // 0000000051A4: 276B68FF FFFF0000
	v_lshlrev_b32_e32 v180, 16, v180                           // 0000000051AC: 25696890
	v_mul_f32_dpp v168, v14, v168 row_newbcast:0 row_mask:0xf bank_mask:0xf// 0000000051B0: 0B5150FA FF01500E
	v_mul_f32_dpp v169, v14, v169 row_newbcast:1 row_mask:0xf bank_mask:0xf// 0000000051B8: 0B5352FA FF01510E
	v_mul_f32_dpp v170, v14, v170 row_newbcast:2 row_mask:0xf bank_mask:0xf// 0000000051C0: 0B5554FA FF01520E
	v_mul_f32_dpp v171, v14, v171 row_newbcast:3 row_mask:0xf bank_mask:0xf// 0000000051C8: 0B5756FA FF01530E
	v_mul_f32_dpp v172, v14, v172 row_newbcast:0 row_mask:0xf bank_mask:0xf// 0000000051D0: 0B5958FA FF01500E
	v_mul_f32_dpp v173, v14, v173 row_newbcast:1 row_mask:0xf bank_mask:0xf// 0000000051D8: 0B5B5AFA FF01510E
	v_mul_f32_dpp v174, v14, v174 row_newbcast:2 row_mask:0xf bank_mask:0xf// 0000000051E0: 0B5D5CFA FF01520E
	v_mul_f32_dpp v175, v14, v175 row_newbcast:3 row_mask:0xf bank_mask:0xf// 0000000051E8: 0B5F5EFA FF01530E
	v_mul_f32_dpp v176, v14, v176 row_newbcast:4 row_mask:0xf bank_mask:0xf// 0000000051F0: 0B6160FA FF01540E
	v_mul_f32_dpp v177, v14, v177 row_newbcast:5 row_mask:0xf bank_mask:0xf// 0000000051F8: 0B6362FA FF01550E
	v_mul_f32_dpp v178, v14, v178 row_newbcast:6 row_mask:0xf bank_mask:0xf// 000000005200: 0B6564FA FF01560E
	v_mul_f32_dpp v179, v14, v179 row_newbcast:7 row_mask:0xf bank_mask:0xf// 000000005208: 0B6766FA FF01570E
	v_mul_f32_dpp v180, v14, v180 row_newbcast:4 row_mask:0xf bank_mask:0xf// 000000005210: 0B6968FA FF01540E
	v_mul_f32_dpp v181, v14, v181 row_newbcast:5 row_mask:0xf bank_mask:0xf// 000000005218: 0B6B6AFA FF01550E
	v_mul_f32_dpp v182, v14, v182 row_newbcast:6 row_mask:0xf bank_mask:0xf// 000000005220: 0B6D6CFA FF01560E
	v_mul_f32_dpp v183, v14, v183 row_newbcast:7 row_mask:0xf bank_mask:0xf// 000000005228: 0B6F6EFA FF01570E
	v_mfma_i32_16x16x32_i8 v[236:239], a[80:81], v[216:217], 0 // 000000005230: D3D700EC 0A03B150
	v_mfma_i32_16x16x32_i8 v[236:239], a[82:83], v[218:219], v[236:239]// 000000005238: D3D700EC 0FB3B552
	buffer_load_dwordx4 a[8:11], v36, s[24:27], 0 offen offset:2048// 000000005240: E05C1800 80860824
	v_mfma_i32_16x16x32_i8 v[236:239], a[84:85], v[220:221], v[236:239]// 000000005248: D3D700EC 0FB3B954
	v_mfma_i32_16x16x32_i8 v[236:239], a[86:87], v[222:223], v[236:239]// 000000005250: D3D700EC 0FB3BD56
	v_mfma_i32_16x16x32_i8 v[236:239], a[88:89], v[224:225], v[236:239]// 000000005258: D3D700EC 0FB3C158
	v_mfma_i32_16x16x32_i8 v[236:239], a[90:91], v[226:227], v[236:239]// 000000005260: D3D700EC 0FB3C55A
	buffer_load_dwordx4 a[12:15], v36, s[24:27], 0 offen offset:3072// 000000005268: E05C1C00 80860C24
	v_mfma_i32_16x16x32_i8 v[236:239], a[92:93], v[228:229], v[236:239]// 000000005270: D3D700EC 0FB3C95C
	v_mfma_i32_16x16x32_i8 v[236:239], a[94:95], v[230:231], v[236:239]// 000000005278: D3D700EC 0FB3CD5E
	s_waitcnt lgkmcnt(0)                                       // 000000005280: BF8CC07F
	v_and_b32_e32 v187, 0xffff0000, v185                       // 000000005284: 277772FF FFFF0000
	v_lshlrev_b32_e32 v186, 16, v185                           // 00000000528C: 25757290
	v_and_b32_e32 v185, 0xffff0000, v184                       // 000000005290: 277370FF FFFF0000
	v_lshlrev_b32_e32 v184, 16, v184                           // 000000005298: 25717090
	v_and_b32_e32 v191, 0xffff0000, v189                       // 00000000529C: 277F7AFF FFFF0000
	v_lshlrev_b32_e32 v190, 16, v189                           // 0000000052A4: 257D7A90
	v_and_b32_e32 v189, 0xffff0000, v188                       // 0000000052A8: 277B78FF FFFF0000
	v_lshlrev_b32_e32 v188, 16, v188                           // 0000000052B0: 25797890
	v_and_b32_e32 v195, 0xffff0000, v193                       // 0000000052B4: 278782FF FFFF0000
	v_lshlrev_b32_e32 v194, 16, v193                           // 0000000052BC: 25858290
	v_and_b32_e32 v193, 0xffff0000, v192                       // 0000000052C0: 278380FF FFFF0000
	v_lshlrev_b32_e32 v192, 16, v192                           // 0000000052C8: 25818090
	v_and_b32_e32 v199, 0xffff0000, v197                       // 0000000052CC: 278F8AFF FFFF0000
	v_lshlrev_b32_e32 v198, 16, v197                           // 0000000052D4: 258D8A90
	v_and_b32_e32 v197, 0xffff0000, v196                       // 0000000052D8: 278B88FF FFFF0000
	v_lshlrev_b32_e32 v196, 16, v196                           // 0000000052E0: 25898890
	v_mul_f32_dpp v184, v14, v184 row_newbcast:8 row_mask:0xf bank_mask:0xf// 0000000052E4: 0B7170FA FF01580E
	v_mul_f32_dpp v185, v14, v185 row_newbcast:9 row_mask:0xf bank_mask:0xf// 0000000052EC: 0B7372FA FF01590E
	v_mul_f32_dpp v186, v14, v186 row_newbcast:10 row_mask:0xf bank_mask:0xf// 0000000052F4: 0B7574FA FF015A0E
	v_mul_f32_dpp v187, v14, v187 row_newbcast:11 row_mask:0xf bank_mask:0xf// 0000000052FC: 0B7776FA FF015B0E
	v_mul_f32_dpp v188, v14, v188 row_newbcast:8 row_mask:0xf bank_mask:0xf// 000000005304: 0B7978FA FF01580E
	v_mul_f32_dpp v189, v14, v189 row_newbcast:9 row_mask:0xf bank_mask:0xf// 00000000530C: 0B7B7AFA FF01590E
	v_mul_f32_dpp v190, v14, v190 row_newbcast:10 row_mask:0xf bank_mask:0xf// 000000005314: 0B7D7CFA FF015A0E
	v_mul_f32_dpp v191, v14, v191 row_newbcast:11 row_mask:0xf bank_mask:0xf// 00000000531C: 0B7F7EFA FF015B0E
	v_mul_f32_dpp v192, v14, v192 row_newbcast:12 row_mask:0xf bank_mask:0xf// 000000005324: 0B8180FA FF015C0E
	v_mul_f32_dpp v193, v14, v193 row_newbcast:13 row_mask:0xf bank_mask:0xf// 00000000532C: 0B8382FA FF015D0E
	v_mul_f32_dpp v194, v14, v194 row_newbcast:14 row_mask:0xf bank_mask:0xf// 000000005334: 0B8584FA FF015E0E
	v_mul_f32_dpp v195, v14, v195 row_newbcast:15 row_mask:0xf bank_mask:0xf// 00000000533C: 0B8786FA FF015F0E
	v_mul_f32_dpp v196, v14, v196 row_newbcast:12 row_mask:0xf bank_mask:0xf// 000000005344: 0B8988FA FF015C0E
	v_mul_f32_dpp v197, v14, v197 row_newbcast:13 row_mask:0xf bank_mask:0xf// 00000000534C: 0B8B8AFA FF015D0E
	v_mul_f32_dpp v198, v14, v198 row_newbcast:14 row_mask:0xf bank_mask:0xf// 000000005354: 0B8D8CFA FF015E0E
	v_mul_f32_dpp v199, v14, v199 row_newbcast:15 row_mask:0xf bank_mask:0xf// 00000000535C: 0B8F8EFA FF015F0E
	v_cvt_f32_i32_e32 v232, v232                               // 000000005364: 7FD00BE8
	v_cvt_f32_i32_e32 v233, v233                               // 000000005368: 7FD20BE9
	v_cvt_f32_i32_e32 v234, v234                               // 00000000536C: 7FD40BEA
	v_cvt_f32_i32_e32 v235, v235                               // 000000005370: 7FD60BEB
	v_pk_fma_f32 v[64:65], v[232:233], v[240:241], v[64:65]    // 000000005374: D3B04040 1D03E1E8
	v_pk_fma_f32 v[66:67], v[234:235], v[240:241], v[66:67]    // 00000000537C: D3B04042 1D0BE1EA
	v_mfma_i32_16x16x32_i8 v[232:235], a[96:97], v[200:201], 0 // 000000005384: D3D700E8 0A039160
	v_mfma_i32_16x16x32_i8 v[232:235], a[98:99], v[202:203], v[232:235]// 00000000538C: D3D700E8 0FA39562
	buffer_load_dwordx4 a[16:19], v37, s[24:27], 0 offen       // 000000005394: E05C1000 80861025
	v_mov_b32_e32 v46, 0x358637bd                              // 00000000539C: 7E5C02FF 358637BD
	v_mov_b32_e32 v47, 0x358637bd                              // 0000000053A4: 7E5E02FF 358637BD
	v_max3_f32 v46, |v168|, |v169|, v46                        // 0000000053AC: D1D3032E 04BB53A8
	v_max3_f32 v46, |v170|, |v171|, v46                        // 0000000053B4: D1D3032E 04BB57AA
	v_max3_f32 v47, |v172|, |v173|, v47                        // 0000000053BC: D1D3032F 04BF5BAC
	v_max3_f32 v47, |v174|, |v175|, v47                        // 0000000053C4: D1D3032F 04BF5FAE
	v_max3_f32 v46, |v176|, |v177|, v46                        // 0000000053CC: D1D3032E 04BB63B0
	v_max3_f32 v46, |v178|, |v179|, v46                        // 0000000053D4: D1D3032E 04BB67B2
	v_max3_f32 v47, |v180|, |v181|, v47                        // 0000000053DC: D1D3032F 04BF6BB4
	v_max3_f32 v47, |v182|, |v183|, v47                        // 0000000053E4: D1D3032F 04BF6FB6
	v_max3_f32 v46, |v184|, |v185|, v46                        // 0000000053EC: D1D3032E 04BB73B8
	v_max3_f32 v46, |v186|, |v187|, v46                        // 0000000053F4: D1D3032E 04BB77BA
	v_max3_f32 v47, |v188|, |v189|, v47                        // 0000000053FC: D1D3032F 04BF7BBC
	v_max3_f32 v47, |v190|, |v191|, v47                        // 000000005404: D1D3032F 04BF7FBE
	v_max3_f32 v46, |v192|, |v193|, v46                        // 00000000540C: D1D3032E 04BB83C0
	v_max3_f32 v46, |v194|, |v195|, v46                        // 000000005414: D1D3032E 04BB87C2
	v_max3_f32 v47, |v196|, |v197|, v47                        // 00000000541C: D1D3032F 04BF8BC4
	v_max3_f32 v47, |v198|, |v199|, v47                        // 000000005424: D1D3032F 04BF8FC6
	v_mfma_i32_16x16x32_i8 v[232:235], a[100:101], v[204:205], v[232:235]// 00000000542C: D3D700E8 0FA39964
	ds_write_b64 v3, v[46:47]                                  // 000000005434: D89A0000 00002E03
	v_mfma_i32_16x16x32_i8 v[232:235], a[102:103], v[206:207], v[232:235]// 00000000543C: D3D700E8 0FA39D66
	v_mfma_i32_16x16x32_i8 v[232:235], a[104:105], v[208:209], v[232:235]// 000000005444: D3D700E8 0FA3A168
	v_mfma_i32_16x16x32_i8 v[232:235], a[106:107], v[210:211], v[232:235]// 00000000544C: D3D700E8 0FA3A56A
	buffer_load_dwordx4 a[20:23], v37, s[24:27], 0 offen offset:1024// 000000005454: E05C1400 80861425
	s_waitcnt lgkmcnt(0)                                       // 00000000545C: BF8CC07F
	s_barrier                                                  // 000000005460: BF8A0000
	v_mfma_i32_16x16x32_i8 v[232:235], a[108:109], v[212:213], v[232:235]// 000000005464: D3D700E8 0FA3A96C
	ds_read_b64 v[46:47], v4                                   // 00000000546C: D8EC0000 2E000004
	ds_read_b64 v[48:49], v4 offset:128                        // 000000005474: D8EC0080 30000004
	v_mfma_i32_16x16x32_i8 v[232:235], a[110:111], v[214:215], v[232:235]// 00000000547C: D3D700E8 0FA3AD6E
	v_cvt_f32_i32_e32 v236, v236                               // 000000005484: 7FD80BEC
	v_cvt_f32_i32_e32 v237, v237                               // 000000005488: 7FDA0BED
	v_cvt_f32_i32_e32 v238, v238                               // 00000000548C: 7FDC0BEE
	v_cvt_f32_i32_e32 v239, v239                               // 000000005490: 7FDE0BEF
	v_pk_fma_f32 v[68:69], v[236:237], v[242:243], v[68:69]    // 000000005494: D3B04044 1D13E5EC
	v_pk_fma_f32 v[70:71], v[238:239], v[242:243], v[70:71]    // 00000000549C: D3B04046 1D1BE5EE
	v_mfma_i32_16x16x32_i8 v[236:239], a[96:97], v[216:217], 0 // 0000000054A4: D3D700EC 0A03B160
	ds_read_b64 v[50:51], v4 offset:256                        // 0000000054AC: D8EC0100 32000004
	ds_read_b64 v[52:53], v4 offset:384                        // 0000000054B4: D8EC0180 34000004
	v_mfma_i32_16x16x32_i8 v[236:239], a[98:99], v[218:219], v[236:239]// 0000000054BC: D3D700EC 0FB3B562
	buffer_load_dwordx4 a[24:27], v37, s[24:27], 0 offen offset:2048// 0000000054C4: E05C1800 80861825
	v_mfma_i32_16x16x32_i8 v[236:239], a[100:101], v[220:221], v[236:239]// 0000000054CC: D3D700EC 0FB3B964
	ds_read_b64 v[54:55], v4 offset:512                        // 0000000054D4: D8EC0200 36000004
	ds_read_b64 v[56:57], v4 offset:640                        // 0000000054DC: D8EC0280 38000004
	v_mfma_i32_16x16x32_i8 v[236:239], a[102:103], v[222:223], v[236:239]// 0000000054E4: D3D700EC 0FB3BD66
	v_mfma_i32_16x16x32_i8 v[236:239], a[104:105], v[224:225], v[236:239]// 0000000054EC: D3D700EC 0FB3C168
	ds_read_b64 v[58:59], v4 offset:768                        // 0000000054F4: D8EC0300 3A000004
	ds_read_b64 v[60:61], v4 offset:896                        // 0000000054FC: D8EC0380 3C000004
	v_mfma_i32_16x16x32_i8 v[236:239], a[106:107], v[226:227], v[236:239]// 000000005504: D3D700EC 0FB3C56A
	buffer_load_dwordx4 a[28:31], v37, s[24:27], 0 offen offset:3072// 00000000550C: E05C1C00 80861C25
	v_mfma_i32_16x16x32_i8 v[236:239], a[108:109], v[228:229], v[236:239]// 000000005514: D3D700EC 0FB3C96C
	v_mfma_i32_16x16x32_i8 v[236:239], a[110:111], v[230:231], v[236:239]// 00000000551C: D3D700EC 0FB3CD6E
	v_cvt_f32_i32_e32 v232, v232                               // 000000005524: 7FD00BE8
	v_cvt_f32_i32_e32 v233, v233                               // 000000005528: 7FD20BE9
	v_cvt_f32_i32_e32 v234, v234                               // 00000000552C: 7FD40BEA
	v_cvt_f32_i32_e32 v235, v235                               // 000000005530: 7FD60BEB
	v_pk_fma_f32 v[72:73], v[232:233], v[240:241], v[72:73]    // 000000005534: D3B04048 1D23E1E8
	v_pk_fma_f32 v[74:75], v[234:235], v[240:241], v[74:75]    // 00000000553C: D3B0404A 1D2BE1EA
	s_waitcnt vmcnt(16)                                        // 000000005544: BF8C4F70
	v_mfma_i32_16x16x32_i8 v[232:235], a[112:113], v[200:201], 0// 000000005548: D3D700E8 0A039170
	v_mfma_i32_16x16x32_i8 v[232:235], a[114:115], v[202:203], v[232:235]// 000000005550: D3D700E8 0FA39572
	buffer_load_dwordx4 a[32:35], v38, s[24:27], 0 offen       // 000000005558: E05C1000 80862026
	s_waitcnt lgkmcnt(0)                                       // 000000005560: BF8CC07F
	v_mov_b32_e32 v22, 0x358637bd                              // 000000005564: 7E2C02FF 358637BD
	v_mov_b32_e32 v23, 0x358637bd                              // 00000000556C: 7E2E02FF 358637BD
	v_max3_f32 v22, |v46|, |v48|, v22                          // 000000005574: D1D30316 045A612E
	v_max3_f32 v23, |v47|, |v49|, v23                          // 00000000557C: D1D30317 045E632F
	v_max3_f32 v22, |v50|, |v52|, v22                          // 000000005584: D1D30316 045A6932
	v_max3_f32 v23, |v51|, |v53|, v23                          // 00000000558C: D1D30317 045E6B33
	v_max3_f32 v22, |v54|, |v56|, v22                          // 000000005594: D1D30316 045A7136
	v_max3_f32 v23, |v55|, |v57|, v23                          // 00000000559C: D1D30317 045E7337
	v_max3_f32 v22, |v58|, |v60|, v22                          // 0000000055A4: D1D30316 045A793A
	v_max3_f32 v23, |v59|, |v61|, v23                          // 0000000055AC: D1D30317 045E7B3B
	v_mfma_i32_16x16x32_i8 v[232:235], a[116:117], v[204:205], v[232:235]// 0000000055B4: D3D700E8 0FA39974
	ds_read_b64 v[46:47], v4 offset:1024                       // 0000000055BC: D8EC0400 2E000004
	ds_read_b64 v[48:49], v4 offset:1152                       // 0000000055C4: D8EC0480 30000004
	v_mfma_i32_16x16x32_i8 v[232:235], a[118:119], v[206:207], v[232:235]// 0000000055CC: D3D700E8 0FA39D76
	v_mfma_i32_16x16x32_i8 v[232:235], a[120:121], v[208:209], v[232:235]// 0000000055D4: D3D700E8 0FA3A178
	ds_read_b64 v[50:51], v4 offset:1280                       // 0000000055DC: D8EC0500 32000004
	ds_read_b64 v[52:53], v4 offset:1408                       // 0000000055E4: D8EC0580 34000004
	v_mfma_i32_16x16x32_i8 v[232:235], a[122:123], v[210:211], v[232:235]// 0000000055EC: D3D700E8 0FA3A57A
	buffer_load_dwordx4 a[36:39], v38, s[24:27], 0 offen offset:1024// 0000000055F4: E05C1400 80862426
	v_mfma_i32_16x16x32_i8 v[232:235], a[124:125], v[212:213], v[232:235]// 0000000055FC: D3D700E8 0FA3A97C
	ds_read_b64 v[54:55], v4 offset:1536                       // 000000005604: D8EC0600 36000004
	ds_read_b64 v[56:57], v4 offset:1664                       // 00000000560C: D8EC0680 38000004
	v_mfma_i32_16x16x32_i8 v[232:235], a[126:127], v[214:215], v[232:235]// 000000005614: D3D700E8 0FA3AD7E
	v_cvt_f32_i32_e32 v236, v236                               // 00000000561C: 7FD80BEC
	v_cvt_f32_i32_e32 v237, v237                               // 000000005620: 7FDA0BED
	v_cvt_f32_i32_e32 v238, v238                               // 000000005624: 7FDC0BEE
	v_cvt_f32_i32_e32 v239, v239                               // 000000005628: 7FDE0BEF
	v_pk_fma_f32 v[76:77], v[236:237], v[242:243], v[76:77]    // 00000000562C: D3B0404C 1D33E5EC
	v_pk_fma_f32 v[78:79], v[238:239], v[242:243], v[78:79]    // 000000005634: D3B0404E 1D3BE5EE
	v_mfma_i32_16x16x32_i8 v[236:239], a[112:113], v[216:217], 0// 00000000563C: D3D700EC 0A03B170
	ds_read_b64 v[58:59], v4 offset:1792                       // 000000005644: D8EC0700 3A000004
	ds_read_b64 v[60:61], v4 offset:1920                       // 00000000564C: D8EC0780 3C000004
	v_mfma_i32_16x16x32_i8 v[236:239], a[114:115], v[218:219], v[236:239]// 000000005654: D3D700EC 0FB3B572
	buffer_load_dwordx4 a[40:43], v38, s[24:27], 0 offen offset:2048// 00000000565C: E05C1800 80862826
	v_mfma_i32_16x16x32_i8 v[236:239], a[116:117], v[220:221], v[236:239]// 000000005664: D3D700EC 0FB3B974
	v_mfma_i32_16x16x32_i8 v[236:239], a[118:119], v[222:223], v[236:239]// 00000000566C: D3D700EC 0FB3BD76
	v_mfma_i32_16x16x32_i8 v[236:239], a[120:121], v[224:225], v[236:239]// 000000005674: D3D700EC 0FB3C178
	v_mfma_i32_16x16x32_i8 v[236:239], a[122:123], v[226:227], v[236:239]// 00000000567C: D3D700EC 0FB3C57A
	buffer_load_dwordx4 a[44:47], v38, s[24:27], 0 offen offset:3072// 000000005684: E05C1C00 80862C26
	s_waitcnt lgkmcnt(0)                                       // 00000000568C: BF8CC07F
	v_max3_f32 v22, |v46|, |v48|, v22                          // 000000005690: D1D30316 045A612E
	v_max3_f32 v23, |v47|, |v49|, v23                          // 000000005698: D1D30317 045E632F
	v_max3_f32 v22, |v50|, |v52|, v22                          // 0000000056A0: D1D30316 045A6932
	v_max3_f32 v23, |v51|, |v53|, v23                          // 0000000056A8: D1D30317 045E6B33
	v_max3_f32 v22, |v54|, |v56|, v22                          // 0000000056B0: D1D30316 045A7136
	v_max3_f32 v23, |v55|, |v57|, v23                          // 0000000056B8: D1D30317 045E7337
	v_max3_f32 v22, |v58|, |v60|, v22                          // 0000000056C0: D1D30316 045A793A
	v_max3_f32 v23, |v59|, |v61|, v23                          // 0000000056C8: D1D30317 045E7B3B
	v_mov_b32_e32 v42, 0x42fe0000                              // 0000000056D0: 7E5402FF 42FE0000
	v_rcp_f32_e32 v22, v22                                     // 0000000056D8: 7E2C4516
	v_rcp_f32_e32 v23, v23                                     // 0000000056DC: 7E2E4517
	s_nop 1                                                    // 0000000056E0: BF800001
	v_mul_f32_e32 v22, v42, v22                                // 0000000056E4: 0A2C2D2A
	v_mul_f32_e32 v23, v42, v23                                // 0000000056E8: 0A2E2F2A
	v_rcp_f32_e32 v24, v22                                     // 0000000056EC: 7E304516
	v_rcp_f32_e32 v25, v23                                     // 0000000056F0: 7E324517
	v_mov_b32_e32 v42, v22                                     // 0000000056F4: 7E540316
	v_mov_b32_e32 v43, v22                                     // 0000000056F8: 7E560316
	v_mov_b32_e32 v44, v23                                     // 0000000056FC: 7E580317
	v_mov_b32_e32 v45, v23                                     // 000000005700: 7E5A0317
	v_pk_mul_f32 v[168:169], v[42:43], v[168:169]              // 000000005704: D3B140A8 1803512A
	v_pk_mul_f32 v[170:171], v[42:43], v[170:171]              // 00000000570C: D3B140AA 1803552A
	v_cvt_i32_f32_e32 v168, v168                               // 000000005714: 7F5011A8
	v_cvt_i32_f32_e32 v169, v169                               // 000000005718: 7F5211A9
	v_cvt_i32_f32_e32 v170, v170                               // 00000000571C: 7F5411AA
	v_cvt_i32_f32_e32 v171, v171                               // 000000005720: 7F5611AB
	v_perm_b32 v168, v169, v168, s53                           // 000000005724: D1ED00A8 00D751A9
	v_perm_b32 v168, v170, v168, s54                           // 00000000572C: D1ED00A8 00DB51AA
	v_perm_b32 v168, v171, v168, s55                           // 000000005734: D1ED00A8 00DF51AB
	v_pk_mul_f32 v[172:173], v[44:45], v[172:173]              // 00000000573C: D3B140AC 1803592C
	v_pk_mul_f32 v[174:175], v[44:45], v[174:175]              // 000000005744: D3B140AE 18035D2C
	v_cvt_i32_f32_e32 v172, v172                               // 00000000574C: 7F5811AC
	v_cvt_i32_f32_e32 v173, v173                               // 000000005750: 7F5A11AD
	v_cvt_i32_f32_e32 v174, v174                               // 000000005754: 7F5C11AE
	v_cvt_i32_f32_e32 v175, v175                               // 000000005758: 7F5E11AF
	v_perm_b32 v169, v173, v172, s53                           // 00000000575C: D1ED00A9 00D759AD
	v_perm_b32 v169, v174, v169, s54                           // 000000005764: D1ED00A9 00DB53AE
	v_perm_b32 v169, v175, v169, s55                           // 00000000576C: D1ED00A9 00DF53AF
	v_pk_mul_f32 v[176:177], v[42:43], v[176:177]              // 000000005774: D3B140B0 1803612A
	v_pk_mul_f32 v[178:179], v[42:43], v[178:179]              // 00000000577C: D3B140B2 1803652A
	v_cvt_i32_f32_e32 v176, v176                               // 000000005784: 7F6011B0
	v_cvt_i32_f32_e32 v177, v177                               // 000000005788: 7F6211B1
	v_cvt_i32_f32_e32 v178, v178                               // 00000000578C: 7F6411B2
	v_cvt_i32_f32_e32 v179, v179                               // 000000005790: 7F6611B3
	v_perm_b32 v170, v177, v176, s53                           // 000000005794: D1ED00AA 00D761B1
	v_perm_b32 v170, v178, v170, s54                           // 00000000579C: D1ED00AA 00DB55B2
	v_perm_b32 v170, v179, v170, s55                           // 0000000057A4: D1ED00AA 00DF55B3
	v_pk_mul_f32 v[180:181], v[44:45], v[180:181]              // 0000000057AC: D3B140B4 1803692C
	v_pk_mul_f32 v[182:183], v[44:45], v[182:183]              // 0000000057B4: D3B140B6 18036D2C
	v_cvt_i32_f32_e32 v180, v180                               // 0000000057BC: 7F6811B4
	v_cvt_i32_f32_e32 v181, v181                               // 0000000057C0: 7F6A11B5
	v_cvt_i32_f32_e32 v182, v182                               // 0000000057C4: 7F6C11B6
	v_cvt_i32_f32_e32 v183, v183                               // 0000000057C8: 7F6E11B7
	v_perm_b32 v171, v181, v180, s53                           // 0000000057CC: D1ED00AB 00D769B5
	v_perm_b32 v171, v182, v171, s54                           // 0000000057D4: D1ED00AB 00DB57B6
	v_perm_b32 v171, v183, v171, s55                           // 0000000057DC: D1ED00AB 00DF57B7
	v_pk_mul_f32 v[184:185], v[42:43], v[184:185]              // 0000000057E4: D3B140B8 1803712A
	v_pk_mul_f32 v[186:187], v[42:43], v[186:187]              // 0000000057EC: D3B140BA 1803752A
	v_cvt_i32_f32_e32 v184, v184                               // 0000000057F4: 7F7011B8
	v_cvt_i32_f32_e32 v185, v185                               // 0000000057F8: 7F7211B9
	v_cvt_i32_f32_e32 v186, v186                               // 0000000057FC: 7F7411BA
	v_cvt_i32_f32_e32 v187, v187                               // 000000005800: 7F7611BB
	v_perm_b32 v172, v185, v184, s53                           // 000000005804: D1ED00AC 00D771B9
	v_perm_b32 v172, v186, v172, s54                           // 00000000580C: D1ED00AC 00DB59BA
	v_perm_b32 v172, v187, v172, s55                           // 000000005814: D1ED00AC 00DF59BB
	v_pk_mul_f32 v[188:189], v[44:45], v[188:189]              // 00000000581C: D3B140BC 1803792C
	v_pk_mul_f32 v[190:191], v[44:45], v[190:191]              // 000000005824: D3B140BE 18037D2C
	v_cvt_i32_f32_e32 v188, v188                               // 00000000582C: 7F7811BC
	v_cvt_i32_f32_e32 v189, v189                               // 000000005830: 7F7A11BD
	v_cvt_i32_f32_e32 v190, v190                               // 000000005834: 7F7C11BE
	v_cvt_i32_f32_e32 v191, v191                               // 000000005838: 7F7E11BF
	v_perm_b32 v173, v189, v188, s53                           // 00000000583C: D1ED00AD 00D779BD
	v_perm_b32 v173, v190, v173, s54                           // 000000005844: D1ED00AD 00DB5BBE
	v_perm_b32 v173, v191, v173, s55                           // 00000000584C: D1ED00AD 00DF5BBF
	v_pk_mul_f32 v[192:193], v[42:43], v[192:193]              // 000000005854: D3B140C0 1803812A
	v_pk_mul_f32 v[194:195], v[42:43], v[194:195]              // 00000000585C: D3B140C2 1803852A
	v_cvt_i32_f32_e32 v192, v192                               // 000000005864: 7F8011C0
	v_cvt_i32_f32_e32 v193, v193                               // 000000005868: 7F8211C1
	v_cvt_i32_f32_e32 v194, v194                               // 00000000586C: 7F8411C2
	v_cvt_i32_f32_e32 v195, v195                               // 000000005870: 7F8611C3
	v_perm_b32 v174, v193, v192, s53                           // 000000005874: D1ED00AE 00D781C1
	v_perm_b32 v174, v194, v174, s54                           // 00000000587C: D1ED00AE 00DB5DC2
	v_perm_b32 v174, v195, v174, s55                           // 000000005884: D1ED00AE 00DF5DC3
	v_pk_mul_f32 v[196:197], v[44:45], v[196:197]              // 00000000588C: D3B140C4 1803892C
	v_pk_mul_f32 v[198:199], v[44:45], v[198:199]              // 000000005894: D3B140C6 18038D2C
	v_cvt_i32_f32_e32 v196, v196                               // 00000000589C: 7F8811C4
	v_cvt_i32_f32_e32 v197, v197                               // 0000000058A0: 7F8A11C5
	v_cvt_i32_f32_e32 v198, v198                               // 0000000058A4: 7F8C11C6
	v_cvt_i32_f32_e32 v199, v199                               // 0000000058A8: 7F8E11C7
	v_perm_b32 v175, v197, v196, s53                           // 0000000058AC: D1ED00AF 00D789C5
	v_perm_b32 v175, v198, v175, s54                           // 0000000058B4: D1ED00AF 00DB5FC6
	v_perm_b32 v175, v199, v175, s55                           // 0000000058BC: D1ED00AF 00DF5FC7
	v_mfma_i32_16x16x32_i8 v[236:239], a[124:125], v[228:229], v[236:239]// 0000000058C4: D3D700EC 0FB3C97C
	ds_write_b32 v12, v168 offset:2048                         // 0000000058CC: D81A0800 0000A80C
	ds_write_b32 v12, v169 offset:6144                         // 0000000058D4: D81A1800 0000A90C
	v_mfma_i32_16x16x32_i8 v[236:239], a[126:127], v[230:231], v[236:239]// 0000000058DC: D3D700EC 0FB3CD7E
	v_cvt_f32_i32_e32 v232, v232                               // 0000000058E4: 7FD00BE8
	v_cvt_f32_i32_e32 v233, v233                               // 0000000058E8: 7FD20BE9
	v_cvt_f32_i32_e32 v234, v234                               // 0000000058EC: 7FD40BEA
	v_cvt_f32_i32_e32 v235, v235                               // 0000000058F0: 7FD60BEB
	v_pk_fma_f32 v[80:81], v[232:233], v[240:241], v[80:81]    // 0000000058F4: D3B04050 1D43E1E8
	v_pk_fma_f32 v[82:83], v[234:235], v[240:241], v[82:83]    // 0000000058FC: D3B04052 1D4BE1EA
	s_waitcnt vmcnt(16)                                        // 000000005904: BF8C4F70
	v_mfma_i32_16x16x32_i8 v[232:235], a[128:129], v[200:201], 0// 000000005908: D3D700E8 0A039180
	ds_write_b32 v12, v170 offset:3072                         // 000000005910: D81A0C00 0000AA0C
	ds_write_b32 v12, v171 offset:7168                         // 000000005918: D81A1C00 0000AB0C
	v_mfma_i32_16x16x32_i8 v[232:235], a[130:131], v[202:203], v[232:235]// 000000005920: D3D700E8 0FA39582
	buffer_load_dwordx4 a[48:51], v39, s[24:27], 0 offen       // 000000005928: E05C1000 80863027
	v_mfma_i32_16x16x32_i8 v[232:235], a[132:133], v[204:205], v[232:235]// 000000005930: D3D700E8 0FA39984
	ds_write_b32 v12, v172 offset:4096                         // 000000005938: D81A1000 0000AC0C
	ds_write_b32 v12, v173 offset:8192                         // 000000005940: D81A2000 0000AD0C
	v_mfma_i32_16x16x32_i8 v[232:235], a[134:135], v[206:207], v[232:235]// 000000005948: D3D700E8 0FA39D86
	v_mfma_i32_16x16x32_i8 v[232:235], a[136:137], v[208:209], v[232:235]// 000000005950: D3D700E8 0FA3A188
	ds_write_b32 v12, v174 offset:5120                         // 000000005958: D81A1400 0000AE0C
	ds_write_b32 v12, v175 offset:9216                         // 000000005960: D81A2400 0000AF0C
	v_mfma_i32_16x16x32_i8 v[232:235], a[138:139], v[210:211], v[232:235]// 000000005968: D3D700E8 0FA3A58A
	buffer_load_dwordx4 a[52:55], v39, s[24:27], 0 offen offset:1024// 000000005970: E05C1400 80863427
	v_mfma_i32_16x16x32_i8 v[232:235], a[140:141], v[212:213], v[232:235]// 000000005978: D3D700E8 0FA3A98C
	v_mfma_i32_16x16x32_i8 v[232:235], a[142:143], v[214:215], v[232:235]// 000000005980: D3D700E8 0FA3AD8E
	v_cvt_f32_i32_e32 v236, v236                               // 000000005988: 7FD80BEC
	v_cvt_f32_i32_e32 v237, v237                               // 00000000598C: 7FDA0BED
	v_cvt_f32_i32_e32 v238, v238                               // 000000005990: 7FDC0BEE
	v_cvt_f32_i32_e32 v239, v239                               // 000000005994: 7FDE0BEF
	v_pk_fma_f32 v[84:85], v[236:237], v[242:243], v[84:85]    // 000000005998: D3B04054 1D53E5EC
	v_pk_fma_f32 v[86:87], v[238:239], v[242:243], v[86:87]    // 0000000059A0: D3B04056 1D5BE5EE
	v_mfma_i32_16x16x32_i8 v[236:239], a[128:129], v[216:217], 0// 0000000059A8: D3D700EC 0A03B180
	v_mfma_i32_16x16x32_i8 v[236:239], a[130:131], v[218:219], v[236:239]// 0000000059B0: D3D700EC 0FB3B582
	buffer_load_dwordx4 a[56:59], v39, s[24:27], 0 offen offset:2048// 0000000059B8: E05C1800 80863827
	v_mfma_i32_16x16x32_i8 v[236:239], a[132:133], v[220:221], v[236:239]// 0000000059C0: D3D700EC 0FB3B984
	v_mfma_i32_16x16x32_i8 v[236:239], a[134:135], v[222:223], v[236:239]// 0000000059C8: D3D700EC 0FB3BD86
	s_waitcnt lgkmcnt(0)                                       // 0000000059D0: BF8CC07F
	s_barrier                                                  // 0000000059D4: BF8A0000
	v_mfma_i32_16x16x32_i8 v[236:239], a[136:137], v[224:225], v[236:239]// 0000000059D8: D3D700EC 0FB3C188
	ds_read_b64 v[168:169], v13 offset:2048                    // 0000000059E0: D8EC0800 A800000D
	ds_read_b64 v[170:171], v13 offset:2176                    // 0000000059E8: D8EC0880 AA00000D
	v_mfma_i32_16x16x32_i8 v[236:239], a[138:139], v[226:227], v[236:239]// 0000000059F0: D3D700EC 0FB3C58A
	buffer_load_dwordx4 a[60:63], v39, s[24:27], 0 offen offset:3072// 0000000059F8: E05C1C00 80863C27
	v_mfma_i32_16x16x32_i8 v[236:239], a[140:141], v[228:229], v[236:239]// 000000005A00: D3D700EC 0FB3C98C
	ds_read_b64 v[172:173], v13 offset:3072                    // 000000005A08: D8EC0C00 AC00000D
	ds_read_b64 v[174:175], v13 offset:3200                    // 000000005A10: D8EC0C80 AE00000D
	v_mfma_i32_16x16x32_i8 v[236:239], a[142:143], v[230:231], v[236:239]// 000000005A18: D3D700EC 0FB3CD8E
	v_cvt_f32_i32_e32 v232, v232                               // 000000005A20: 7FD00BE8
	v_cvt_f32_i32_e32 v233, v233                               // 000000005A24: 7FD20BE9
	v_cvt_f32_i32_e32 v234, v234                               // 000000005A28: 7FD40BEA
	v_cvt_f32_i32_e32 v235, v235                               // 000000005A2C: 7FD60BEB
	v_pk_fma_f32 v[88:89], v[232:233], v[240:241], v[88:89]    // 000000005A30: D3B04058 1D63E1E8
	v_pk_fma_f32 v[90:91], v[234:235], v[240:241], v[90:91]    // 000000005A38: D3B0405A 1D6BE1EA
	s_waitcnt vmcnt(16)                                        // 000000005A40: BF8C4F70
	v_mfma_i32_16x16x32_i8 v[232:235], a[144:145], v[200:201], 0// 000000005A44: D3D700E8 0A039190
	ds_read_b64 v[176:177], v13 offset:4096                    // 000000005A4C: D8EC1000 B000000D
	ds_read_b64 v[178:179], v13 offset:4224                    // 000000005A54: D8EC1080 B200000D
	v_mfma_i32_16x16x32_i8 v[232:235], a[146:147], v[202:203], v[232:235]// 000000005A5C: D3D700E8 0FA39592
	buffer_load_dwordx4 a[64:67], v40, s[24:27], 0 offen       // 000000005A64: E05C1000 80864028
	v_mfma_i32_16x16x32_i8 v[232:235], a[148:149], v[204:205], v[232:235]// 000000005A6C: D3D700E8 0FA39994
	ds_read_b64 v[180:181], v13 offset:5120                    // 000000005A74: D8EC1400 B400000D
	ds_read_b64 v[182:183], v13 offset:5248                    // 000000005A7C: D8EC1480 B600000D
	v_mfma_i32_16x16x32_i8 v[232:235], a[150:151], v[206:207], v[232:235]// 000000005A84: D3D700E8 0FA39D96
	v_mfma_i32_16x16x32_i8 v[232:235], a[152:153], v[208:209], v[232:235]// 000000005A8C: D3D700E8 0FA3A198
	ds_read_b64 v[184:185], v13 offset:6144                    // 000000005A94: D8EC1800 B800000D
	ds_read_b64 v[186:187], v13 offset:6272                    // 000000005A9C: D8EC1880 BA00000D
	v_mfma_i32_16x16x32_i8 v[232:235], a[154:155], v[210:211], v[232:235]// 000000005AA4: D3D700E8 0FA3A59A
	buffer_load_dwordx4 a[68:71], v40, s[24:27], 0 offen offset:1024// 000000005AAC: E05C1400 80864428
	v_mfma_i32_16x16x32_i8 v[232:235], a[156:157], v[212:213], v[232:235]// 000000005AB4: D3D700E8 0FA3A99C
	ds_read_b64 v[188:189], v13 offset:7168                    // 000000005ABC: D8EC1C00 BC00000D
	ds_read_b64 v[190:191], v13 offset:7296                    // 000000005AC4: D8EC1C80 BE00000D
	v_mfma_i32_16x16x32_i8 v[232:235], a[158:159], v[214:215], v[232:235]// 000000005ACC: D3D700E8 0FA3AD9E
	v_cvt_f32_i32_e32 v236, v236                               // 000000005AD4: 7FD80BEC
	v_cvt_f32_i32_e32 v237, v237                               // 000000005AD8: 7FDA0BED
	v_cvt_f32_i32_e32 v238, v238                               // 000000005ADC: 7FDC0BEE
	v_cvt_f32_i32_e32 v239, v239                               // 000000005AE0: 7FDE0BEF
	v_pk_fma_f32 v[92:93], v[236:237], v[242:243], v[92:93]    // 000000005AE4: D3B0405C 1D73E5EC
	v_pk_fma_f32 v[94:95], v[238:239], v[242:243], v[94:95]    // 000000005AEC: D3B0405E 1D7BE5EE
	v_mfma_i32_16x16x32_i8 v[236:239], a[144:145], v[216:217], 0// 000000005AF4: D3D700EC 0A03B190
	ds_read_b64 v[192:193], v13 offset:8192                    // 000000005AFC: D8EC2000 C000000D
	ds_read_b64 v[194:195], v13 offset:8320                    // 000000005B04: D8EC2080 C200000D
	v_mfma_i32_16x16x32_i8 v[236:239], a[146:147], v[218:219], v[236:239]// 000000005B0C: D3D700EC 0FB3B592
	buffer_load_dwordx4 a[72:75], v40, s[24:27], 0 offen offset:2048// 000000005B14: E05C1800 80864828
	v_mfma_i32_16x16x32_i8 v[236:239], a[148:149], v[220:221], v[236:239]// 000000005B1C: D3D700EC 0FB3B994
	ds_read_b64 v[196:197], v13 offset:9216                    // 000000005B24: D8EC2400 C400000D
	ds_read_b64 v[198:199], v13 offset:9344                    // 000000005B2C: D8EC2480 C600000D
	v_mfma_i32_16x16x32_i8 v[236:239], a[150:151], v[222:223], v[236:239]// 000000005B34: D3D700EC 0FB3BD96
	v_mfma_i32_16x16x32_i8 v[236:239], a[152:153], v[224:225], v[236:239]// 000000005B3C: D3D700EC 0FB3C198
	v_mfma_i32_16x16x32_i8 v[236:239], a[154:155], v[226:227], v[236:239]// 000000005B44: D3D700EC 0FB3C59A
	buffer_load_dwordx4 a[76:79], v40, s[24:27], 0 offen offset:3072// 000000005B4C: E05C1C00 80864C28
	v_mfma_i32_16x16x32_i8 v[236:239], a[156:157], v[228:229], v[236:239]// 000000005B54: D3D700EC 0FB3C99C
	v_mfma_i32_16x16x32_i8 v[236:239], a[158:159], v[230:231], v[236:239]// 000000005B5C: D3D700EC 0FB3CD9E
	v_cvt_f32_i32_e32 v232, v232                               // 000000005B64: 7FD00BE8
	v_cvt_f32_i32_e32 v233, v233                               // 000000005B68: 7FD20BE9
	v_cvt_f32_i32_e32 v234, v234                               // 000000005B6C: 7FD40BEA
	v_cvt_f32_i32_e32 v235, v235                               // 000000005B70: 7FD60BEB
	v_pk_fma_f32 v[96:97], v[232:233], v[240:241], v[96:97]    // 000000005B74: D3B04060 1D83E1E8
	v_pk_fma_f32 v[98:99], v[234:235], v[240:241], v[98:99]    // 000000005B7C: D3B04062 1D8BE1EA
	v_cvt_f32_i32_e32 v236, v236                               // 000000005B84: 7FD80BEC
	v_cvt_f32_i32_e32 v237, v237                               // 000000005B88: 7FDA0BED
	v_cvt_f32_i32_e32 v238, v238                               // 000000005B8C: 7FDC0BEE
	v_cvt_f32_i32_e32 v239, v239                               // 000000005B90: 7FDE0BEF
	v_pk_fma_f32 v[100:101], v[236:237], v[242:243], v[100:101]// 000000005B94: D3B04064 1D93E5EC
	v_pk_fma_f32 v[102:103], v[238:239], v[242:243], v[102:103]// 000000005B9C: D3B04066 1D9BE5EE
	s_add_u32 s60, 0x200, s80                                  // 000000005BA4: 803C50FF 00000200
	s_cmp_lt_u32 s60, s81                                      // 000000005BAC: BF0A513C
	s_cselect_b32 s57, s57, 0                                  // 000000005BB0: 85398039
	s_cselect_b32 s91, s91, 0                                  // 000000005BB4: 855B805B
	s_add_u32 s60, 0x200, s80                                  // 000000005BB8: 803C50FF 00000200
	s_cmp_lt_u32 s60, s81                                      // 000000005BC0: BF0A513C
	s_cselect_b32 s58, s58, 0                                  // 000000005BC4: 853A803A
	s_add_u32 s20, s57, s20                                    // 000000005BC8: 80141439
	s_addc_u32 s21, 0, s21                                     // 000000005BCC: 82151580
	s_add_u32 s28, s91, s28                                    // 000000005BD0: 801C1C5B
	s_addc_u32 s29, 0, s29                                     // 000000005BD4: 821D1D80
	s_add_u32 s24, s58, s24                                    // 000000005BD8: 8018183A
	s_addc_u32 s25, 0, s25                                     // 000000005BDC: 82191980
	s_add_u32 s92, s90, s92                                    // 000000005BE0: 805C5C5A
	s_addc_u32 s93, 0, s93                                     // 000000005BE4: 825D5D80
	s_addk_i32 s80, 0x100                                      // 000000005BE8: B7500100
	s_cmp_lt_i32 s80, s81                                      // 000000005BEC: BF045150
	s_cbranch_scc0 label_0C3E                                  // 000000005BF0: BF840001
	s_branch label_03F9                                        // 000000005BF4: BF82F7BB

0000000000005bf8 <label_0C3E>:
	s_mov_b32 s20, 0                                           // 000000005BF8: BE940080
	s_cmp_lt_u32 s89, s66                                      // 000000005BFC: BF0A4259
	s_cselect_b32 s60, 0, 1                                    // 000000005C00: 853C8180
	s_lshl1_add_u32 s20, s20, s60                              // 000000005C04: 97143C14
	s_cmp_lt_u32 s88, s66                                      // 000000005C08: BF0A4258
	s_cselect_b32 s60, 0, 1                                    // 000000005C0C: 853C8180
	s_lshl1_add_u32 s20, s20, s60                              // 000000005C10: 97143C14
	s_cmp_lt_u32 s87, s66                                      // 000000005C14: BF0A4257
	s_cselect_b32 s60, 0, 1                                    // 000000005C18: 853C8180
	s_lshl1_add_u32 s20, s20, s60                              // 000000005C1C: 97143C14
	s_cmp_lt_u32 s86, s66                                      // 000000005C20: BF0A4256
	s_cselect_b32 s60, 0, 1                                    // 000000005C24: 853C8180
	s_lshl1_add_u32 s20, s20, s60                              // 000000005C28: 97143C14
	s_cmp_lt_u32 s85, s66                                      // 000000005C2C: BF0A4255
	s_cselect_b32 s60, 0, 1                                    // 000000005C30: 853C8180
	s_lshl1_add_u32 s20, s20, s60                              // 000000005C34: 97143C14
	s_cmp_lt_u32 s84, s66                                      // 000000005C38: BF0A4254
	s_cselect_b32 s60, 0, 1                                    // 000000005C3C: 853C8180
	s_lshl1_add_u32 s20, s20, s60                              // 000000005C40: 97143C14
	s_cmp_lt_u32 s83, s66                                      // 000000005C44: BF0A4253
	s_cselect_b32 s60, 0, 1                                    // 000000005C48: 853C8180
	s_lshl1_add_u32 s20, s20, s60                              // 000000005C4C: 97143C14
	s_cmp_lt_u32 s82, s66                                      // 000000005C50: BF0A4252
	s_cselect_b32 s60, 0, 1                                    // 000000005C54: 853C8180
	s_lshl1_add_u32 s20, s20, s60                              // 000000005C58: 97143C14
	v_mov_b32_e32 v54, 0xbfcc4231                              // 000000005C5C: 7E6C02FF BFCC4231
	v_mov_b32_e32 v55, 0xbfcc4231                              // 000000005C64: 7E6E02FF BFCC4231
	v_mov_b32_e32 v51, 0xffff0000                              // 000000005C6C: 7E6602FF FFFF0000
	v_mov_b32_e32 v52, 0x7fff0000                              // 000000005C74: 7E6802FF 7FFF0000
	v_mov_b32_e32 v53, 0x7fff                                  // 000000005C7C: 7E6A02FF 00007FFF
	s_mul_i32 s60, s5, 16                                      // 000000005C84: 923C9005
	s_mul_i32 s60, s60, s70                                    // 000000005C88: 923C463C
	v_lshlrev_b32_e32 v46, 4, v0                               // 000000005C8C: 245C0084
	v_add_u32_e32 v46, s60, v46                                // 000000005C90: 685C5C3C
	s_mul_i32 s60, 64, s70                                     // 000000005C94: 923C46C0
	v_add_u32_e32 v47, s60, v46                                // 000000005C98: 685E5C3C
	v_add_u32_e32 v48, s60, v47                                // 000000005C9C: 68605E3C
	v_add_u32_e32 v49, s60, v48                                // 000000005CA0: 6862603C
	v_lshrrev_b32_e32 v42, 4, v0                               // 000000005CA4: 20540084
	v_mul_i32_i24_e32 v3, 34, v42                              // 000000005CA8: 0C0654A2
	v_and_b32_e32 v42, 15, v0                                  // 000000005CAC: 2654008F
	v_mul_i32_i24_e32 v43, 2, v42                              // 000000005CB0: 0C565482
	v_add_u32_e32 v3, v43, v3                                  // 000000005CB4: 6806072B
	s_mul_i32 s60, s5, 0x88                                    // 000000005CB8: 923CFF05 00000088
	v_add_u32_e32 v3, s60, v3                                  // 000000005CC0: 6806063C
	v_lshlrev_b32_e32 v3, 2, v3                                // 000000005CC4: 24060682
	v_lshrrev_b32_e32 v42, 1, v0                               // 000000005CC8: 20540081
	v_mul_i32_i24_e32 v4, 34, v42                              // 000000005CCC: 0C0854A2
	v_and_b32_e32 v43, 1, v0                                   // 000000005CD0: 26560081
	v_add_u32_e32 v4, v43, v4                                  // 000000005CD4: 6808092B
	s_mul_i32 s60, s5, 2                                       // 000000005CD8: 923C8205
	v_add_u32_e32 v4, s60, v4                                  // 000000005CDC: 6808083C
	v_lshlrev_b32_e32 v4, 2, v4                                // 000000005CE0: 24080882
	v_mul_f32_dpp v128, v16, v128 row_newbcast:0 row_mask:0xf bank_mask:0xf// 000000005CE4: 0B0100FA FF015010
	v_mul_f32_dpp v129, v16, v129 row_newbcast:1 row_mask:0xf bank_mask:0xf// 000000005CEC: 0B0302FA FF015110
	v_mul_f32_dpp v130, v16, v130 row_newbcast:2 row_mask:0xf bank_mask:0xf// 000000005CF4: 0B0504FA FF015210
	v_mul_f32_dpp v131, v16, v131 row_newbcast:3 row_mask:0xf bank_mask:0xf// 000000005CFC: 0B0706FA FF015310
	v_mul_f32_dpp v132, v16, v132 row_newbcast:0 row_mask:0xf bank_mask:0xf// 000000005D04: 0B0908FA FF015010
	v_mul_f32_dpp v133, v16, v133 row_newbcast:1 row_mask:0xf bank_mask:0xf// 000000005D0C: 0B0B0AFA FF015110
	v_mul_f32_dpp v134, v16, v134 row_newbcast:2 row_mask:0xf bank_mask:0xf// 000000005D14: 0B0D0CFA FF015210
	v_mul_f32_dpp v135, v16, v135 row_newbcast:3 row_mask:0xf bank_mask:0xf// 000000005D1C: 0B0F0EFA FF015310
	v_mul_f32_dpp v136, v16, v136 row_newbcast:4 row_mask:0xf bank_mask:0xf// 000000005D24: 0B1110FA FF015410
	v_mul_f32_dpp v137, v16, v137 row_newbcast:5 row_mask:0xf bank_mask:0xf// 000000005D2C: 0B1312FA FF015510
	v_mul_f32_dpp v138, v16, v138 row_newbcast:6 row_mask:0xf bank_mask:0xf// 000000005D34: 0B1514FA FF015610
	v_mul_f32_dpp v139, v16, v139 row_newbcast:7 row_mask:0xf bank_mask:0xf// 000000005D3C: 0B1716FA FF015710
	v_mul_f32_dpp v140, v16, v140 row_newbcast:4 row_mask:0xf bank_mask:0xf// 000000005D44: 0B1918FA FF015410
	v_mul_f32_dpp v141, v16, v141 row_newbcast:5 row_mask:0xf bank_mask:0xf// 000000005D4C: 0B1B1AFA FF015510
	v_mul_f32_dpp v142, v16, v142 row_newbcast:6 row_mask:0xf bank_mask:0xf// 000000005D54: 0B1D1CFA FF015610
	v_mul_f32_dpp v143, v16, v143 row_newbcast:7 row_mask:0xf bank_mask:0xf// 000000005D5C: 0B1F1EFA FF015710
	v_mul_f32_dpp v144, v16, v144 row_newbcast:8 row_mask:0xf bank_mask:0xf// 000000005D64: 0B2120FA FF015810
	v_mul_f32_dpp v145, v16, v145 row_newbcast:9 row_mask:0xf bank_mask:0xf// 000000005D6C: 0B2322FA FF015910
	v_mul_f32_dpp v146, v16, v146 row_newbcast:10 row_mask:0xf bank_mask:0xf// 000000005D74: 0B2524FA FF015A10
	v_mul_f32_dpp v147, v16, v147 row_newbcast:11 row_mask:0xf bank_mask:0xf// 000000005D7C: 0B2726FA FF015B10
	v_mul_f32_dpp v148, v16, v148 row_newbcast:8 row_mask:0xf bank_mask:0xf// 000000005D84: 0B2928FA FF015810
	v_mul_f32_dpp v149, v16, v149 row_newbcast:9 row_mask:0xf bank_mask:0xf// 000000005D8C: 0B2B2AFA FF015910
	v_mul_f32_dpp v150, v16, v150 row_newbcast:10 row_mask:0xf bank_mask:0xf// 000000005D94: 0B2D2CFA FF015A10
	v_mul_f32_dpp v151, v16, v151 row_newbcast:11 row_mask:0xf bank_mask:0xf// 000000005D9C: 0B2F2EFA FF015B10
	v_mul_f32_dpp v152, v16, v152 row_newbcast:12 row_mask:0xf bank_mask:0xf// 000000005DA4: 0B3130FA FF015C10
	v_mul_f32_dpp v153, v16, v153 row_newbcast:13 row_mask:0xf bank_mask:0xf// 000000005DAC: 0B3332FA FF015D10
	v_mul_f32_dpp v154, v16, v154 row_newbcast:14 row_mask:0xf bank_mask:0xf// 000000005DB4: 0B3534FA FF015E10
	v_mul_f32_dpp v155, v16, v155 row_newbcast:15 row_mask:0xf bank_mask:0xf// 000000005DBC: 0B3736FA FF015F10
	v_mul_f32_dpp v156, v16, v156 row_newbcast:12 row_mask:0xf bank_mask:0xf// 000000005DC4: 0B3938FA FF015C10
	v_mul_f32_dpp v157, v16, v157 row_newbcast:13 row_mask:0xf bank_mask:0xf// 000000005DCC: 0B3B3AFA FF015D10
	v_mul_f32_dpp v158, v16, v158 row_newbcast:14 row_mask:0xf bank_mask:0xf// 000000005DD4: 0B3D3CFA FF015E10
	v_mul_f32_dpp v159, v16, v159 row_newbcast:15 row_mask:0xf bank_mask:0xf// 000000005DDC: 0B3F3EFA FF015F10
	v_mul_f32_dpp v160, v17, v160 row_newbcast:0 row_mask:0xf bank_mask:0xf// 000000005DE4: 0B4140FA FF015011
	v_mul_f32_dpp v161, v17, v161 row_newbcast:1 row_mask:0xf bank_mask:0xf// 000000005DEC: 0B4342FA FF015111
	v_mul_f32_dpp v162, v17, v162 row_newbcast:2 row_mask:0xf bank_mask:0xf// 000000005DF4: 0B4544FA FF015211
	v_mul_f32_dpp v163, v17, v163 row_newbcast:3 row_mask:0xf bank_mask:0xf// 000000005DFC: 0B4746FA FF015311
	v_mul_f32_dpp v164, v17, v164 row_newbcast:0 row_mask:0xf bank_mask:0xf// 000000005E04: 0B4948FA FF015011
	v_mul_f32_dpp v165, v17, v165 row_newbcast:1 row_mask:0xf bank_mask:0xf// 000000005E0C: 0B4B4AFA FF015111
	v_mul_f32_dpp v166, v17, v166 row_newbcast:2 row_mask:0xf bank_mask:0xf// 000000005E14: 0B4D4CFA FF015211
	v_mul_f32_dpp v167, v17, v167 row_newbcast:3 row_mask:0xf bank_mask:0xf// 000000005E1C: 0B4F4EFA FF015311
	v_mul_f32_dpp v64, v8, v64 row_newbcast:0 row_mask:0xf bank_mask:0xf// 000000005E24: 0A8080FA FF015008
	v_mul_f32_dpp v65, v8, v65 row_newbcast:1 row_mask:0xf bank_mask:0xf// 000000005E2C: 0A8282FA FF015108
	v_mul_f32_dpp v66, v8, v66 row_newbcast:2 row_mask:0xf bank_mask:0xf// 000000005E34: 0A8484FA FF015208
	v_mul_f32_dpp v67, v8, v67 row_newbcast:3 row_mask:0xf bank_mask:0xf// 000000005E3C: 0A8686FA FF015308
	v_mul_f32_dpp v68, v8, v68 row_newbcast:0 row_mask:0xf bank_mask:0xf// 000000005E44: 0A8888FA FF015008
	v_mul_f32_dpp v69, v8, v69 row_newbcast:1 row_mask:0xf bank_mask:0xf// 000000005E4C: 0A8A8AFA FF015108
	v_mul_f32_dpp v70, v8, v70 row_newbcast:2 row_mask:0xf bank_mask:0xf// 000000005E54: 0A8C8CFA FF015208
	v_mul_f32_dpp v71, v8, v71 row_newbcast:3 row_mask:0xf bank_mask:0xf// 000000005E5C: 0A8E8EFA FF015308
	v_mul_f32_dpp v72, v8, v72 row_newbcast:4 row_mask:0xf bank_mask:0xf// 000000005E64: 0A9090FA FF015408
	v_mul_f32_dpp v73, v8, v73 row_newbcast:5 row_mask:0xf bank_mask:0xf// 000000005E6C: 0A9292FA FF015508
	v_mul_f32_dpp v74, v8, v74 row_newbcast:6 row_mask:0xf bank_mask:0xf// 000000005E74: 0A9494FA FF015608
	v_mul_f32_dpp v75, v8, v75 row_newbcast:7 row_mask:0xf bank_mask:0xf// 000000005E7C: 0A9696FA FF015708
	v_mul_f32_dpp v76, v8, v76 row_newbcast:4 row_mask:0xf bank_mask:0xf// 000000005E84: 0A9898FA FF015408
	v_mul_f32_dpp v77, v8, v77 row_newbcast:5 row_mask:0xf bank_mask:0xf// 000000005E8C: 0A9A9AFA FF015508
	v_mul_f32_dpp v78, v8, v78 row_newbcast:6 row_mask:0xf bank_mask:0xf// 000000005E94: 0A9C9CFA FF015608
	v_mul_f32_dpp v79, v8, v79 row_newbcast:7 row_mask:0xf bank_mask:0xf// 000000005E9C: 0A9E9EFA FF015708
	v_mul_f32_dpp v80, v8, v80 row_newbcast:8 row_mask:0xf bank_mask:0xf// 000000005EA4: 0AA0A0FA FF015808
	v_mul_f32_dpp v81, v8, v81 row_newbcast:9 row_mask:0xf bank_mask:0xf// 000000005EAC: 0AA2A2FA FF015908
	v_mul_f32_dpp v82, v8, v82 row_newbcast:10 row_mask:0xf bank_mask:0xf// 000000005EB4: 0AA4A4FA FF015A08
	v_mul_f32_dpp v83, v8, v83 row_newbcast:11 row_mask:0xf bank_mask:0xf// 000000005EBC: 0AA6A6FA FF015B08
	v_mul_f32_dpp v84, v8, v84 row_newbcast:8 row_mask:0xf bank_mask:0xf// 000000005EC4: 0AA8A8FA FF015808
	v_mul_f32_dpp v85, v8, v85 row_newbcast:9 row_mask:0xf bank_mask:0xf// 000000005ECC: 0AAAAAFA FF015908
	v_mul_f32_dpp v86, v8, v86 row_newbcast:10 row_mask:0xf bank_mask:0xf// 000000005ED4: 0AACACFA FF015A08
	v_mul_f32_dpp v87, v8, v87 row_newbcast:11 row_mask:0xf bank_mask:0xf// 000000005EDC: 0AAEAEFA FF015B08
	v_mul_f32_dpp v88, v8, v88 row_newbcast:12 row_mask:0xf bank_mask:0xf// 000000005EE4: 0AB0B0FA FF015C08
	v_mul_f32_dpp v89, v8, v89 row_newbcast:13 row_mask:0xf bank_mask:0xf// 000000005EEC: 0AB2B2FA FF015D08
	v_mul_f32_dpp v90, v8, v90 row_newbcast:14 row_mask:0xf bank_mask:0xf// 000000005EF4: 0AB4B4FA FF015E08
	v_mul_f32_dpp v91, v8, v91 row_newbcast:15 row_mask:0xf bank_mask:0xf// 000000005EFC: 0AB6B6FA FF015F08
	v_mul_f32_dpp v92, v8, v92 row_newbcast:12 row_mask:0xf bank_mask:0xf// 000000005F04: 0AB8B8FA FF015C08
	v_mul_f32_dpp v93, v8, v93 row_newbcast:13 row_mask:0xf bank_mask:0xf// 000000005F0C: 0ABABAFA FF015D08
	v_mul_f32_dpp v94, v8, v94 row_newbcast:14 row_mask:0xf bank_mask:0xf// 000000005F14: 0ABCBCFA FF015E08
	v_mul_f32_dpp v95, v8, v95 row_newbcast:15 row_mask:0xf bank_mask:0xf// 000000005F1C: 0ABEBEFA FF015F08
	v_mul_f32_dpp v96, v9, v96 row_newbcast:0 row_mask:0xf bank_mask:0xf// 000000005F24: 0AC0C0FA FF015009
	v_mul_f32_dpp v97, v9, v97 row_newbcast:1 row_mask:0xf bank_mask:0xf// 000000005F2C: 0AC2C2FA FF015109
	v_mul_f32_dpp v98, v9, v98 row_newbcast:2 row_mask:0xf bank_mask:0xf// 000000005F34: 0AC4C4FA FF015209
	v_mul_f32_dpp v99, v9, v99 row_newbcast:3 row_mask:0xf bank_mask:0xf// 000000005F3C: 0AC6C6FA FF015309
	v_mul_f32_dpp v100, v9, v100 row_newbcast:0 row_mask:0xf bank_mask:0xf// 000000005F44: 0AC8C8FA FF015009
	v_mul_f32_dpp v101, v9, v101 row_newbcast:1 row_mask:0xf bank_mask:0xf// 000000005F4C: 0ACACAFA FF015109
	v_mul_f32_dpp v102, v9, v102 row_newbcast:2 row_mask:0xf bank_mask:0xf// 000000005F54: 0ACCCCFA FF015209
	v_mul_f32_dpp v103, v9, v103 row_newbcast:3 row_mask:0xf bank_mask:0xf// 000000005F5C: 0ACECEFA FF015309
	s_waitcnt vmcnt(16)                                        // 000000005F64: BF8C4F70
	buffer_load_dwordx4 a[0:3], v46, s[12:15], 0 offen         // 000000005F68: E05C1000 8083002E
	v_mul_f32_e64 v42, -v128, s6                               // 000000005F70: D105002A 20000D80
	v_mul_f32_e64 v43, -v129, s6                               // 000000005F78: D105002B 20000D81
	v_mul_f32_e64 v44, -v130, s6                               // 000000005F80: D105002C 20000D82
	v_mul_f32_e64 v45, -v131, s6                               // 000000005F88: D105002D 20000D83
	v_exp_f32_e32 v42, v42                                     // 000000005F90: 7E54412A
	v_exp_f32_e32 v43, v43                                     // 000000005F94: 7E56412B
	v_exp_f32_e32 v44, v44                                     // 000000005F98: 7E58412C
	v_exp_f32_e32 v45, v45                                     // 000000005F9C: 7E5A412D
	buffer_load_dwordx4 a[4:7], v47, s[12:15], 0 offen         // 000000005FA0: E05C1000 8083042F
	v_add_f32_e64 v42, v42, 1.0                                // 000000005FA8: D101002A 0001E52A
	v_add_f32_e64 v43, v43, 1.0                                // 000000005FB0: D101002B 0001E52B
	v_add_f32_e64 v44, v44, 1.0                                // 000000005FB8: D101002C 0001E52C
	v_add_f32_e64 v45, v45, 1.0                                // 000000005FC0: D101002D 0001E52D
	v_rcp_f32_e32 v42, v42                                     // 000000005FC8: 7E54452A
	v_rcp_f32_e32 v43, v43                                     // 000000005FCC: 7E56452B
	v_rcp_f32_e32 v44, v44                                     // 000000005FD0: 7E58452C
	v_rcp_f32_e32 v45, v45                                     // 000000005FD4: 7E5A452D
	v_pk_mul_f32 v[128:129], v[128:129], v[42:43]              // 000000005FD8: D3B14080 18025580
	v_pk_mul_f32 v[130:131], v[130:131], v[44:45]              // 000000005FE0: D3B14082 18025982
	v_pk_mul_f32 v[128:129], v[128:129], v[64:65]              // 000000005FE8: D3B14080 18028180
	v_pk_mul_f32 v[130:131], v[130:131], v[66:67]              // 000000005FF0: D3B14082 18028582
	buffer_load_dwordx4 a[8:11], v48, s[12:15], 0 offen        // 000000005FF8: E05C1000 80830830
	v_mul_f32_e64 v42, -v132, s6                               // 000000006000: D105002A 20000D84
	v_mul_f32_e64 v43, -v133, s6                               // 000000006008: D105002B 20000D85
	v_mul_f32_e64 v44, -v134, s6                               // 000000006010: D105002C 20000D86
	v_mul_f32_e64 v45, -v135, s6                               // 000000006018: D105002D 20000D87
	v_exp_f32_e32 v42, v42                                     // 000000006020: 7E54412A
	v_exp_f32_e32 v43, v43                                     // 000000006024: 7E56412B
	v_exp_f32_e32 v44, v44                                     // 000000006028: 7E58412C
	v_exp_f32_e32 v45, v45                                     // 00000000602C: 7E5A412D
	buffer_load_dwordx4 a[12:15], v49, s[12:15], 0 offen       // 000000006030: E05C1000 80830C31
	s_add_u32 s12, s78, s12                                    // 000000006038: 800C0C4E
	s_addc_u32 s13, 0, s13                                     // 00000000603C: 820D0D80
	v_add_f32_e64 v42, v42, 1.0                                // 000000006040: D101002A 0001E52A
	v_add_f32_e64 v43, v43, 1.0                                // 000000006048: D101002B 0001E52B
	v_add_f32_e64 v44, v44, 1.0                                // 000000006050: D101002C 0001E52C
	v_add_f32_e64 v45, v45, 1.0                                // 000000006058: D101002D 0001E52D
	v_rcp_f32_e32 v42, v42                                     // 000000006060: 7E54452A
	v_rcp_f32_e32 v43, v43                                     // 000000006064: 7E56452B
	v_rcp_f32_e32 v44, v44                                     // 000000006068: 7E58452C
	v_rcp_f32_e32 v45, v45                                     // 00000000606C: 7E5A452D
	v_pk_mul_f32 v[132:133], v[132:133], v[42:43]              // 000000006070: D3B14084 18025584
	v_pk_mul_f32 v[134:135], v[134:135], v[44:45]              // 000000006078: D3B14086 18025986
	v_pk_mul_f32 v[132:133], v[132:133], v[68:69]              // 000000006080: D3B14084 18028984
	v_pk_mul_f32 v[134:135], v[134:135], v[70:71]              // 000000006088: D3B14086 18028D86
	s_waitcnt vmcnt(16)                                        // 000000006090: BF8C4F70
	buffer_load_dwordx4 a[16:19], v46, s[12:15], 0 offen       // 000000006094: E05C1000 8083102E
	v_mul_f32_e64 v42, -v136, s6                               // 00000000609C: D105002A 20000D88
	v_mul_f32_e64 v43, -v137, s6                               // 0000000060A4: D105002B 20000D89
	v_mul_f32_e64 v44, -v138, s6                               // 0000000060AC: D105002C 20000D8A
	v_mul_f32_e64 v45, -v139, s6                               // 0000000060B4: D105002D 20000D8B
	v_exp_f32_e32 v42, v42                                     // 0000000060BC: 7E54412A
	v_exp_f32_e32 v43, v43                                     // 0000000060C0: 7E56412B
	v_exp_f32_e32 v44, v44                                     // 0000000060C4: 7E58412C
	v_exp_f32_e32 v45, v45                                     // 0000000060C8: 7E5A412D
	buffer_load_dwordx4 a[20:23], v47, s[12:15], 0 offen       // 0000000060CC: E05C1000 8083142F
	v_add_f32_e64 v42, v42, 1.0                                // 0000000060D4: D101002A 0001E52A
	v_add_f32_e64 v43, v43, 1.0                                // 0000000060DC: D101002B 0001E52B
	v_add_f32_e64 v44, v44, 1.0                                // 0000000060E4: D101002C 0001E52C
	v_add_f32_e64 v45, v45, 1.0                                // 0000000060EC: D101002D 0001E52D
	v_rcp_f32_e32 v42, v42                                     // 0000000060F4: 7E54452A
	v_rcp_f32_e32 v43, v43                                     // 0000000060F8: 7E56452B
	v_rcp_f32_e32 v44, v44                                     // 0000000060FC: 7E58452C
	v_rcp_f32_e32 v45, v45                                     // 000000006100: 7E5A452D
	v_pk_mul_f32 v[136:137], v[136:137], v[42:43]              // 000000006104: D3B14088 18025588
	v_pk_mul_f32 v[138:139], v[138:139], v[44:45]              // 00000000610C: D3B1408A 1802598A
	v_pk_mul_f32 v[136:137], v[136:137], v[72:73]              // 000000006114: D3B14088 18029188
	v_pk_mul_f32 v[138:139], v[138:139], v[74:75]              // 00000000611C: D3B1408A 1802958A
	buffer_load_dwordx4 a[24:27], v48, s[12:15], 0 offen       // 000000006124: E05C1000 80831830
	v_mul_f32_e64 v42, -v140, s6                               // 00000000612C: D105002A 20000D8C
	v_mul_f32_e64 v43, -v141, s6                               // 000000006134: D105002B 20000D8D
	v_mul_f32_e64 v44, -v142, s6                               // 00000000613C: D105002C 20000D8E
	v_mul_f32_e64 v45, -v143, s6                               // 000000006144: D105002D 20000D8F
	v_exp_f32_e32 v42, v42                                     // 00000000614C: 7E54412A
	v_exp_f32_e32 v43, v43                                     // 000000006150: 7E56412B
	v_exp_f32_e32 v44, v44                                     // 000000006154: 7E58412C
	v_exp_f32_e32 v45, v45                                     // 000000006158: 7E5A412D
	buffer_load_dwordx4 a[28:31], v49, s[12:15], 0 offen       // 00000000615C: E05C1000 80831C31
	s_add_u32 s12, s78, s12                                    // 000000006164: 800C0C4E
	s_addc_u32 s13, 0, s13                                     // 000000006168: 820D0D80
	v_add_f32_e64 v42, v42, 1.0                                // 00000000616C: D101002A 0001E52A
	v_add_f32_e64 v43, v43, 1.0                                // 000000006174: D101002B 0001E52B
	v_add_f32_e64 v44, v44, 1.0                                // 00000000617C: D101002C 0001E52C
	v_add_f32_e64 v45, v45, 1.0                                // 000000006184: D101002D 0001E52D
	v_rcp_f32_e32 v42, v42                                     // 00000000618C: 7E54452A
	v_rcp_f32_e32 v43, v43                                     // 000000006190: 7E56452B
	v_rcp_f32_e32 v44, v44                                     // 000000006194: 7E58452C
	v_rcp_f32_e32 v45, v45                                     // 000000006198: 7E5A452D
	v_pk_mul_f32 v[140:141], v[140:141], v[42:43]              // 00000000619C: D3B1408C 1802558C
	v_pk_mul_f32 v[142:143], v[142:143], v[44:45]              // 0000000061A4: D3B1408E 1802598E
	v_pk_mul_f32 v[140:141], v[140:141], v[76:77]              // 0000000061AC: D3B1408C 1802998C
	v_pk_mul_f32 v[142:143], v[142:143], v[78:79]              // 0000000061B4: D3B1408E 18029D8E
	s_waitcnt vmcnt(16)                                        // 0000000061BC: BF8C4F70
	buffer_load_dwordx4 a[32:35], v46, s[12:15], 0 offen       // 0000000061C0: E05C1000 8083202E
	v_mul_f32_e64 v42, -v144, s6                               // 0000000061C8: D105002A 20000D90
	v_mul_f32_e64 v43, -v145, s6                               // 0000000061D0: D105002B 20000D91
	v_mul_f32_e64 v44, -v146, s6                               // 0000000061D8: D105002C 20000D92
	v_mul_f32_e64 v45, -v147, s6                               // 0000000061E0: D105002D 20000D93
	v_exp_f32_e32 v42, v42                                     // 0000000061E8: 7E54412A
	v_exp_f32_e32 v43, v43                                     // 0000000061EC: 7E56412B
	v_exp_f32_e32 v44, v44                                     // 0000000061F0: 7E58412C
	v_exp_f32_e32 v45, v45                                     // 0000000061F4: 7E5A412D
	buffer_load_dwordx4 a[36:39], v47, s[12:15], 0 offen       // 0000000061F8: E05C1000 8083242F
	v_add_f32_e64 v42, v42, 1.0                                // 000000006200: D101002A 0001E52A
	v_add_f32_e64 v43, v43, 1.0                                // 000000006208: D101002B 0001E52B
	v_add_f32_e64 v44, v44, 1.0                                // 000000006210: D101002C 0001E52C
	v_add_f32_e64 v45, v45, 1.0                                // 000000006218: D101002D 0001E52D
	v_rcp_f32_e32 v42, v42                                     // 000000006220: 7E54452A
	v_rcp_f32_e32 v43, v43                                     // 000000006224: 7E56452B
	v_rcp_f32_e32 v44, v44                                     // 000000006228: 7E58452C
	v_rcp_f32_e32 v45, v45                                     // 00000000622C: 7E5A452D
	v_pk_mul_f32 v[144:145], v[144:145], v[42:43]              // 000000006230: D3B14090 18025590
	v_pk_mul_f32 v[146:147], v[146:147], v[44:45]              // 000000006238: D3B14092 18025992
	v_pk_mul_f32 v[144:145], v[144:145], v[80:81]              // 000000006240: D3B14090 1802A190
	v_pk_mul_f32 v[146:147], v[146:147], v[82:83]              // 000000006248: D3B14092 1802A592
	buffer_load_dwordx4 a[40:43], v48, s[12:15], 0 offen       // 000000006250: E05C1000 80832830
	v_mul_f32_e64 v42, -v148, s6                               // 000000006258: D105002A 20000D94
	v_mul_f32_e64 v43, -v149, s6                               // 000000006260: D105002B 20000D95
	v_mul_f32_e64 v44, -v150, s6                               // 000000006268: D105002C 20000D96
	v_mul_f32_e64 v45, -v151, s6                               // 000000006270: D105002D 20000D97
	v_exp_f32_e32 v42, v42                                     // 000000006278: 7E54412A
	v_exp_f32_e32 v43, v43                                     // 00000000627C: 7E56412B
	v_exp_f32_e32 v44, v44                                     // 000000006280: 7E58412C
	v_exp_f32_e32 v45, v45                                     // 000000006284: 7E5A412D
	buffer_load_dwordx4 a[44:47], v49, s[12:15], 0 offen       // 000000006288: E05C1000 80832C31
	s_add_u32 s12, s78, s12                                    // 000000006290: 800C0C4E
	s_addc_u32 s13, 0, s13                                     // 000000006294: 820D0D80
	v_add_f32_e64 v42, v42, 1.0                                // 000000006298: D101002A 0001E52A
	v_add_f32_e64 v43, v43, 1.0                                // 0000000062A0: D101002B 0001E52B
	v_add_f32_e64 v44, v44, 1.0                                // 0000000062A8: D101002C 0001E52C
	v_add_f32_e64 v45, v45, 1.0                                // 0000000062B0: D101002D 0001E52D
	v_rcp_f32_e32 v42, v42                                     // 0000000062B8: 7E54452A
	v_rcp_f32_e32 v43, v43                                     // 0000000062BC: 7E56452B
	v_rcp_f32_e32 v44, v44                                     // 0000000062C0: 7E58452C
	v_rcp_f32_e32 v45, v45                                     // 0000000062C4: 7E5A452D
	v_pk_mul_f32 v[148:149], v[148:149], v[42:43]              // 0000000062C8: D3B14094 18025594
	v_pk_mul_f32 v[150:151], v[150:151], v[44:45]              // 0000000062D0: D3B14096 18025996
	v_pk_mul_f32 v[148:149], v[148:149], v[84:85]              // 0000000062D8: D3B14094 1802A994
	v_pk_mul_f32 v[150:151], v[150:151], v[86:87]              // 0000000062E0: D3B14096 1802AD96
	s_waitcnt vmcnt(16)                                        // 0000000062E8: BF8C4F70
	buffer_load_dwordx4 a[48:51], v46, s[12:15], 0 offen       // 0000000062EC: E05C1000 8083302E
	v_mul_f32_e64 v42, -v152, s6                               // 0000000062F4: D105002A 20000D98
	v_mul_f32_e64 v43, -v153, s6                               // 0000000062FC: D105002B 20000D99
	v_mul_f32_e64 v44, -v154, s6                               // 000000006304: D105002C 20000D9A
	v_mul_f32_e64 v45, -v155, s6                               // 00000000630C: D105002D 20000D9B
	v_exp_f32_e32 v42, v42                                     // 000000006314: 7E54412A
	v_exp_f32_e32 v43, v43                                     // 000000006318: 7E56412B
	v_exp_f32_e32 v44, v44                                     // 00000000631C: 7E58412C
	v_exp_f32_e32 v45, v45                                     // 000000006320: 7E5A412D
	buffer_load_dwordx4 a[52:55], v47, s[12:15], 0 offen       // 000000006324: E05C1000 8083342F
	v_add_f32_e64 v42, v42, 1.0                                // 00000000632C: D101002A 0001E52A
	v_add_f32_e64 v43, v43, 1.0                                // 000000006334: D101002B 0001E52B
	v_add_f32_e64 v44, v44, 1.0                                // 00000000633C: D101002C 0001E52C
	v_add_f32_e64 v45, v45, 1.0                                // 000000006344: D101002D 0001E52D
	v_rcp_f32_e32 v42, v42                                     // 00000000634C: 7E54452A
	v_rcp_f32_e32 v43, v43                                     // 000000006350: 7E56452B
	v_rcp_f32_e32 v44, v44                                     // 000000006354: 7E58452C
	v_rcp_f32_e32 v45, v45                                     // 000000006358: 7E5A452D
	v_pk_mul_f32 v[152:153], v[152:153], v[42:43]              // 00000000635C: D3B14098 18025598
	v_pk_mul_f32 v[154:155], v[154:155], v[44:45]              // 000000006364: D3B1409A 1802599A
	v_pk_mul_f32 v[152:153], v[152:153], v[88:89]              // 00000000636C: D3B14098 1802B198
	v_pk_mul_f32 v[154:155], v[154:155], v[90:91]              // 000000006374: D3B1409A 1802B59A
	buffer_load_dwordx4 a[56:59], v48, s[12:15], 0 offen       // 00000000637C: E05C1000 80833830
	v_mul_f32_e64 v42, -v156, s6                               // 000000006384: D105002A 20000D9C
	v_mul_f32_e64 v43, -v157, s6                               // 00000000638C: D105002B 20000D9D
	v_mul_f32_e64 v44, -v158, s6                               // 000000006394: D105002C 20000D9E
	v_mul_f32_e64 v45, -v159, s6                               // 00000000639C: D105002D 20000D9F
	v_exp_f32_e32 v42, v42                                     // 0000000063A4: 7E54412A
	v_exp_f32_e32 v43, v43                                     // 0000000063A8: 7E56412B
	v_exp_f32_e32 v44, v44                                     // 0000000063AC: 7E58412C
	v_exp_f32_e32 v45, v45                                     // 0000000063B0: 7E5A412D
	buffer_load_dwordx4 a[60:63], v49, s[12:15], 0 offen       // 0000000063B4: E05C1000 80833C31
	s_add_u32 s12, s78, s12                                    // 0000000063BC: 800C0C4E
	s_addc_u32 s13, 0, s13                                     // 0000000063C0: 820D0D80
	v_add_f32_e64 v42, v42, 1.0                                // 0000000063C4: D101002A 0001E52A
	v_add_f32_e64 v43, v43, 1.0                                // 0000000063CC: D101002B 0001E52B
	v_add_f32_e64 v44, v44, 1.0                                // 0000000063D4: D101002C 0001E52C
	v_add_f32_e64 v45, v45, 1.0                                // 0000000063DC: D101002D 0001E52D
	v_rcp_f32_e32 v42, v42                                     // 0000000063E4: 7E54452A
	v_rcp_f32_e32 v43, v43                                     // 0000000063E8: 7E56452B
	v_rcp_f32_e32 v44, v44                                     // 0000000063EC: 7E58452C
	v_rcp_f32_e32 v45, v45                                     // 0000000063F0: 7E5A452D
	v_pk_mul_f32 v[156:157], v[156:157], v[42:43]              // 0000000063F4: D3B1409C 1802559C
	v_pk_mul_f32 v[158:159], v[158:159], v[44:45]              // 0000000063FC: D3B1409E 1802599E
	v_pk_mul_f32 v[156:157], v[156:157], v[92:93]              // 000000006404: D3B1409C 1802B99C
	v_pk_mul_f32 v[158:159], v[158:159], v[94:95]              // 00000000640C: D3B1409E 1802BD9E
	s_waitcnt vmcnt(16)                                        // 000000006414: BF8C4F70
	buffer_load_dwordx4 a[64:67], v46, s[12:15], 0 offen       // 000000006418: E05C1000 8083402E
	v_mul_f32_e64 v42, -v160, s6                               // 000000006420: D105002A 20000DA0
	v_mul_f32_e64 v43, -v161, s6                               // 000000006428: D105002B 20000DA1
	v_mul_f32_e64 v44, -v162, s6                               // 000000006430: D105002C 20000DA2
	v_mul_f32_e64 v45, -v163, s6                               // 000000006438: D105002D 20000DA3
	v_exp_f32_e32 v42, v42                                     // 000000006440: 7E54412A
	v_exp_f32_e32 v43, v43                                     // 000000006444: 7E56412B
	v_exp_f32_e32 v44, v44                                     // 000000006448: 7E58412C
	v_exp_f32_e32 v45, v45                                     // 00000000644C: 7E5A412D
	buffer_load_dwordx4 a[68:71], v47, s[12:15], 0 offen       // 000000006450: E05C1000 8083442F
	v_add_f32_e64 v42, v42, 1.0                                // 000000006458: D101002A 0001E52A
	v_add_f32_e64 v43, v43, 1.0                                // 000000006460: D101002B 0001E52B
	v_add_f32_e64 v44, v44, 1.0                                // 000000006468: D101002C 0001E52C
	v_add_f32_e64 v45, v45, 1.0                                // 000000006470: D101002D 0001E52D
	v_rcp_f32_e32 v42, v42                                     // 000000006478: 7E54452A
	v_rcp_f32_e32 v43, v43                                     // 00000000647C: 7E56452B
	v_rcp_f32_e32 v44, v44                                     // 000000006480: 7E58452C
	v_rcp_f32_e32 v45, v45                                     // 000000006484: 7E5A452D
	v_pk_mul_f32 v[160:161], v[160:161], v[42:43]              // 000000006488: D3B140A0 180255A0
	v_pk_mul_f32 v[162:163], v[162:163], v[44:45]              // 000000006490: D3B140A2 180259A2
	v_pk_mul_f32 v[160:161], v[160:161], v[96:97]              // 000000006498: D3B140A0 1802C1A0
	v_pk_mul_f32 v[162:163], v[162:163], v[98:99]              // 0000000064A0: D3B140A2 1802C5A2
	buffer_load_dwordx4 a[72:75], v48, s[12:15], 0 offen       // 0000000064A8: E05C1000 80834830
	v_mul_f32_e64 v42, -v164, s6                               // 0000000064B0: D105002A 20000DA4
	v_mul_f32_e64 v43, -v165, s6                               // 0000000064B8: D105002B 20000DA5
	v_mul_f32_e64 v44, -v166, s6                               // 0000000064C0: D105002C 20000DA6
	v_mul_f32_e64 v45, -v167, s6                               // 0000000064C8: D105002D 20000DA7
	v_exp_f32_e32 v42, v42                                     // 0000000064D0: 7E54412A
	v_exp_f32_e32 v43, v43                                     // 0000000064D4: 7E56412B
	v_exp_f32_e32 v44, v44                                     // 0000000064D8: 7E58412C
	v_exp_f32_e32 v45, v45                                     // 0000000064DC: 7E5A412D
	buffer_load_dwordx4 a[76:79], v49, s[12:15], 0 offen       // 0000000064E0: E05C1000 80834C31
	v_add_f32_e64 v42, v42, 1.0                                // 0000000064E8: D101002A 0001E52A
	v_add_f32_e64 v43, v43, 1.0                                // 0000000064F0: D101002B 0001E52B
	v_add_f32_e64 v44, v44, 1.0                                // 0000000064F8: D101002C 0001E52C
	v_add_f32_e64 v45, v45, 1.0                                // 000000006500: D101002D 0001E52D
	v_rcp_f32_e32 v42, v42                                     // 000000006508: 7E54452A
	v_rcp_f32_e32 v43, v43                                     // 00000000650C: 7E56452B
	v_rcp_f32_e32 v44, v44                                     // 000000006510: 7E58452C
	v_rcp_f32_e32 v45, v45                                     // 000000006514: 7E5A452D
	v_pk_mul_f32 v[164:165], v[164:165], v[42:43]              // 000000006518: D3B140A4 180255A4
	v_pk_mul_f32 v[166:167], v[166:167], v[44:45]              // 000000006520: D3B140A6 180259A6
	v_pk_mul_f32 v[164:165], v[164:165], v[100:101]            // 000000006528: D3B140A4 1802C9A4
	v_pk_mul_f32 v[166:167], v[166:167], v[102:103]            // 000000006530: D3B140A6 1802CDA6
	v_mul_f32_dpp v128, v18, v128 row_newbcast:0 row_mask:0xf bank_mask:0xf// 000000006538: 0B0100FA FF015012
	v_mul_f32_dpp v129, v18, v129 row_newbcast:1 row_mask:0xf bank_mask:0xf// 000000006540: 0B0302FA FF015112
	v_mul_f32_dpp v130, v18, v130 row_newbcast:2 row_mask:0xf bank_mask:0xf// 000000006548: 0B0504FA FF015212
	v_mul_f32_dpp v131, v18, v131 row_newbcast:3 row_mask:0xf bank_mask:0xf// 000000006550: 0B0706FA FF015312
	v_mul_f32_dpp v132, v18, v132 row_newbcast:0 row_mask:0xf bank_mask:0xf// 000000006558: 0B0908FA FF015012
	v_mul_f32_dpp v133, v18, v133 row_newbcast:1 row_mask:0xf bank_mask:0xf// 000000006560: 0B0B0AFA FF015112
	v_mul_f32_dpp v134, v18, v134 row_newbcast:2 row_mask:0xf bank_mask:0xf// 000000006568: 0B0D0CFA FF015212
	v_mul_f32_dpp v135, v18, v135 row_newbcast:3 row_mask:0xf bank_mask:0xf// 000000006570: 0B0F0EFA FF015312
	v_mul_f32_dpp v136, v18, v136 row_newbcast:4 row_mask:0xf bank_mask:0xf// 000000006578: 0B1110FA FF015412
	v_mul_f32_dpp v137, v18, v137 row_newbcast:5 row_mask:0xf bank_mask:0xf// 000000006580: 0B1312FA FF015512
	v_mul_f32_dpp v138, v18, v138 row_newbcast:6 row_mask:0xf bank_mask:0xf// 000000006588: 0B1514FA FF015612
	v_mul_f32_dpp v139, v18, v139 row_newbcast:7 row_mask:0xf bank_mask:0xf// 000000006590: 0B1716FA FF015712
	v_mul_f32_dpp v140, v18, v140 row_newbcast:4 row_mask:0xf bank_mask:0xf// 000000006598: 0B1918FA FF015412
	v_mul_f32_dpp v141, v18, v141 row_newbcast:5 row_mask:0xf bank_mask:0xf// 0000000065A0: 0B1B1AFA FF015512
	v_mul_f32_dpp v142, v18, v142 row_newbcast:6 row_mask:0xf bank_mask:0xf// 0000000065A8: 0B1D1CFA FF015612
	v_mul_f32_dpp v143, v18, v143 row_newbcast:7 row_mask:0xf bank_mask:0xf// 0000000065B0: 0B1F1EFA FF015712
	v_mul_f32_dpp v144, v18, v144 row_newbcast:8 row_mask:0xf bank_mask:0xf// 0000000065B8: 0B2120FA FF015812
	v_mul_f32_dpp v145, v18, v145 row_newbcast:9 row_mask:0xf bank_mask:0xf// 0000000065C0: 0B2322FA FF015912
	v_mul_f32_dpp v146, v18, v146 row_newbcast:10 row_mask:0xf bank_mask:0xf// 0000000065C8: 0B2524FA FF015A12
	v_mul_f32_dpp v147, v18, v147 row_newbcast:11 row_mask:0xf bank_mask:0xf// 0000000065D0: 0B2726FA FF015B12
	v_mul_f32_dpp v148, v18, v148 row_newbcast:8 row_mask:0xf bank_mask:0xf// 0000000065D8: 0B2928FA FF015812
	v_mul_f32_dpp v149, v18, v149 row_newbcast:9 row_mask:0xf bank_mask:0xf// 0000000065E0: 0B2B2AFA FF015912
	v_mul_f32_dpp v150, v18, v150 row_newbcast:10 row_mask:0xf bank_mask:0xf// 0000000065E8: 0B2D2CFA FF015A12
	v_mul_f32_dpp v151, v18, v151 row_newbcast:11 row_mask:0xf bank_mask:0xf// 0000000065F0: 0B2F2EFA FF015B12
	v_mul_f32_dpp v152, v18, v152 row_newbcast:12 row_mask:0xf bank_mask:0xf// 0000000065F8: 0B3130FA FF015C12
	v_mul_f32_dpp v153, v18, v153 row_newbcast:13 row_mask:0xf bank_mask:0xf// 000000006600: 0B3332FA FF015D12
	v_mul_f32_dpp v154, v18, v154 row_newbcast:14 row_mask:0xf bank_mask:0xf// 000000006608: 0B3534FA FF015E12
	v_mul_f32_dpp v155, v18, v155 row_newbcast:15 row_mask:0xf bank_mask:0xf// 000000006610: 0B3736FA FF015F12
	v_mul_f32_dpp v156, v18, v156 row_newbcast:12 row_mask:0xf bank_mask:0xf// 000000006618: 0B3938FA FF015C12
	v_mul_f32_dpp v157, v18, v157 row_newbcast:13 row_mask:0xf bank_mask:0xf// 000000006620: 0B3B3AFA FF015D12
	v_mul_f32_dpp v158, v18, v158 row_newbcast:14 row_mask:0xf bank_mask:0xf// 000000006628: 0B3D3CFA FF015E12
	v_mul_f32_dpp v159, v18, v159 row_newbcast:15 row_mask:0xf bank_mask:0xf// 000000006630: 0B3F3EFA FF015F12
	v_mul_f32_dpp v160, v19, v160 row_newbcast:0 row_mask:0xf bank_mask:0xf// 000000006638: 0B4140FA FF015013
	v_mul_f32_dpp v161, v19, v161 row_newbcast:1 row_mask:0xf bank_mask:0xf// 000000006640: 0B4342FA FF015113
	v_mul_f32_dpp v162, v19, v162 row_newbcast:2 row_mask:0xf bank_mask:0xf// 000000006648: 0B4544FA FF015213
	v_mul_f32_dpp v163, v19, v163 row_newbcast:3 row_mask:0xf bank_mask:0xf// 000000006650: 0B4746FA FF015313
	v_mul_f32_dpp v164, v19, v164 row_newbcast:0 row_mask:0xf bank_mask:0xf// 000000006658: 0B4948FA FF015013
	v_mul_f32_dpp v165, v19, v165 row_newbcast:1 row_mask:0xf bank_mask:0xf// 000000006660: 0B4B4AFA FF015113
	v_mul_f32_dpp v166, v19, v166 row_newbcast:2 row_mask:0xf bank_mask:0xf// 000000006668: 0B4D4CFA FF015213
	v_mul_f32_dpp v167, v19, v167 row_newbcast:3 row_mask:0xf bank_mask:0xf// 000000006670: 0B4F4EFA FF015313
	v_lshlrev_b32_e32 v42, 2, v0                               // 000000006678: 24540082
	s_mul_i32 s60, s82, s71                                    // 00000000667C: 923C4752
	v_add_u32_e64 v80, v42, s60                                // 000000006680: D1340050 0000792A
	v_mov_b32_e32 v81, 0                                       // 000000006688: 7EA20280
	s_mul_i32 s60, s83, s71                                    // 00000000668C: 923C4753
	v_add_u32_e64 v82, v42, s60                                // 000000006690: D1340052 0000792A
	v_mov_b32_e32 v83, 0                                       // 000000006698: 7EA60280
	s_mul_i32 s60, s84, s71                                    // 00000000669C: 923C4754
	v_add_u32_e64 v84, v42, s60                                // 0000000066A0: D1340054 0000792A
	v_mov_b32_e32 v85, 0                                       // 0000000066A8: 7EAA0280
	s_mul_i32 s60, s85, s71                                    // 0000000066AC: 923C4755
	v_add_u32_e64 v86, v42, s60                                // 0000000066B0: D1340056 0000792A
	v_mov_b32_e32 v87, 0                                       // 0000000066B8: 7EAE0280
	s_mul_i32 s60, s86, s71                                    // 0000000066BC: 923C4756
	v_add_u32_e64 v88, v42, s60                                // 0000000066C0: D1340058 0000792A
	v_mov_b32_e32 v89, 0                                       // 0000000066C8: 7EB20280
	s_mul_i32 s60, s87, s71                                    // 0000000066CC: 923C4757
	v_add_u32_e64 v90, v42, s60                                // 0000000066D0: D134005A 0000792A
	v_mov_b32_e32 v91, 0                                       // 0000000066D8: 7EB60280
	s_mul_i32 s60, s88, s71                                    // 0000000066DC: 923C4758
	v_add_u32_e64 v92, v42, s60                                // 0000000066E0: D134005C 0000792A
	v_mov_b32_e32 v93, 0                                       // 0000000066E8: 7EBA0280
	s_mul_i32 s60, s89, s71                                    // 0000000066EC: 923C4759
	v_add_u32_e64 v94, v42, s60                                // 0000000066F0: D134005E 0000792A
	v_mov_b32_e32 v95, 0                                       // 0000000066F8: 7EBE0280
	buffer_load_dword v12, v5, s[16:19], 0 offen               // 0000000066FC: E0501000 80040C05
	v_mov_b32_e32 v22, 0x358637bd                              // 000000006704: 7E2C02FF 358637BD
	v_mov_b32_e32 v23, 0x358637bd                              // 00000000670C: 7E2E02FF 358637BD
	v_max3_f32 v22, |v128|, |v129|, v22                        // 000000006714: D1D30316 045B0380
	v_max3_f32 v22, |v130|, |v131|, v22                        // 00000000671C: D1D30316 045B0782
	v_max3_f32 v23, |v132|, |v133|, v23                        // 000000006724: D1D30317 045F0B84
	v_max3_f32 v23, |v134|, |v135|, v23                        // 00000000672C: D1D30317 045F0F86
	v_max3_f32 v22, |v136|, |v137|, v22                        // 000000006734: D1D30316 045B1388
	v_max3_f32 v22, |v138|, |v139|, v22                        // 00000000673C: D1D30316 045B178A
	v_max3_f32 v23, |v140|, |v141|, v23                        // 000000006744: D1D30317 045F1B8C
	v_max3_f32 v23, |v142|, |v143|, v23                        // 00000000674C: D1D30317 045F1F8E
	v_max3_f32 v22, |v144|, |v145|, v22                        // 000000006754: D1D30316 045B2390
	v_max3_f32 v22, |v146|, |v147|, v22                        // 00000000675C: D1D30316 045B2792
	v_max3_f32 v23, |v148|, |v149|, v23                        // 000000006764: D1D30317 045F2B94
	v_max3_f32 v23, |v150|, |v151|, v23                        // 00000000676C: D1D30317 045F2F96
	v_max3_f32 v22, |v152|, |v153|, v22                        // 000000006774: D1D30316 045B3398
	v_max3_f32 v22, |v154|, |v155|, v22                        // 00000000677C: D1D30316 045B379A
	v_max3_f32 v23, |v156|, |v157|, v23                        // 000000006784: D1D30317 045F3B9C
	v_max3_f32 v23, |v158|, |v159|, v23                        // 00000000678C: D1D30317 045F3F9E
	v_max3_f32 v22, |v160|, |v161|, v22                        // 000000006794: D1D30316 045B43A0
	v_max3_f32 v22, |v162|, |v163|, v22                        // 00000000679C: D1D30316 045B47A2
	v_max3_f32 v23, |v164|, |v165|, v23                        // 0000000067A4: D1D30317 045F4BA4
	v_max3_f32 v23, |v166|, |v167|, v23                        // 0000000067AC: D1D30317 045F4FA6
	v_lshlrev_b32_e32 v42, 3, v0                               // 0000000067B4: 24540083
	s_mul_i32 s60, 0x200, s5                                   // 0000000067B8: 923C05FF 00000200
	v_add_u32_e32 v42, s60, v42                                // 0000000067C0: 6854543C
	ds_write_b64 v42, v[22:23]                                 // 0000000067C4: D89A0000 0000162A
	s_waitcnt lgkmcnt(0)                                       // 0000000067CC: BF8CC07F
	s_barrier                                                  // 0000000067D0: BF8A0000
	v_and_b32_e32 v42, 15, v0                                  // 0000000067D4: 2654008F
	v_lshlrev_b32_e32 v42, 3, v42                              // 0000000067D8: 24545483
	ds_read_b64 v[96:97], v42                                  // 0000000067DC: D8EC0000 6000002A
	ds_read_b64 v[98:99], v42 offset:128                       // 0000000067E4: D8EC0080 6200002A
	ds_read_b64 v[100:101], v42 offset:256                     // 0000000067EC: D8EC0100 6400002A
	ds_read_b64 v[102:103], v42 offset:384                     // 0000000067F4: D8EC0180 6600002A
	ds_read_b64 v[104:105], v42 offset:512                     // 0000000067FC: D8EC0200 6800002A
	ds_read_b64 v[106:107], v42 offset:640                     // 000000006804: D8EC0280 6A00002A
	ds_read_b64 v[108:109], v42 offset:768                     // 00000000680C: D8EC0300 6C00002A
	ds_read_b64 v[110:111], v42 offset:896                     // 000000006814: D8EC0380 6E00002A
	ds_read_b64 v[112:113], v42 offset:1024                    // 00000000681C: D8EC0400 7000002A
	ds_read_b64 v[114:115], v42 offset:1152                    // 000000006824: D8EC0480 7200002A
	ds_read_b64 v[116:117], v42 offset:1280                    // 00000000682C: D8EC0500 7400002A
	ds_read_b64 v[118:119], v42 offset:1408                    // 000000006834: D8EC0580 7600002A
	ds_read_b64 v[120:121], v42 offset:1536                    // 00000000683C: D8EC0600 7800002A
	ds_read_b64 v[122:123], v42 offset:1664                    // 000000006844: D8EC0680 7A00002A
	ds_read_b64 v[124:125], v42 offset:1792                    // 00000000684C: D8EC0700 7C00002A
	ds_read_b64 v[126:127], v42 offset:1920                    // 000000006854: D8EC0780 7E00002A
	s_waitcnt lgkmcnt(0)                                       // 00000000685C: BF8CC07F
	v_max3_f32 v22, |v96|, |v98|, v22                          // 000000006860: D1D30316 045AC560
	v_max3_f32 v23, |v97|, |v99|, v23                          // 000000006868: D1D30317 045EC761
	v_max3_f32 v22, |v100|, |v102|, v22                        // 000000006870: D1D30316 045ACD64
	v_max3_f32 v23, |v101|, |v103|, v23                        // 000000006878: D1D30317 045ECF65
	v_max3_f32 v22, |v104|, |v106|, v22                        // 000000006880: D1D30316 045AD568
	v_max3_f32 v23, |v105|, |v107|, v23                        // 000000006888: D1D30317 045ED769
	v_max3_f32 v22, |v108|, |v110|, v22                        // 000000006890: D1D30316 045ADD6C
	v_max3_f32 v23, |v109|, |v111|, v23                        // 000000006898: D1D30317 045EDF6D
	v_max3_f32 v22, |v112|, |v114|, v22                        // 0000000068A0: D1D30316 045AE570
	v_max3_f32 v23, |v113|, |v115|, v23                        // 0000000068A8: D1D30317 045EE771
	v_max3_f32 v22, |v116|, |v118|, v22                        // 0000000068B0: D1D30316 045AED74
	v_max3_f32 v23, |v117|, |v119|, v23                        // 0000000068B8: D1D30317 045EEF75
	v_max3_f32 v22, |v120|, |v122|, v22                        // 0000000068C0: D1D30316 045AF578
	v_max3_f32 v23, |v121|, |v123|, v23                        // 0000000068C8: D1D30317 045EF779
	v_max3_f32 v22, |v124|, |v126|, v22                        // 0000000068D0: D1D30316 045AFD7C
	v_max3_f32 v23, |v125|, |v127|, v23                        // 0000000068D8: D1D30317 045EFF7D
	v_rcp_f32_e32 v22, v22                                     // 0000000068E0: 7E2C4516
	v_rcp_f32_e32 v23, v23                                     // 0000000068E4: 7E2E4517
	v_mov_b32_e32 v42, 0x42fe0000                              // 0000000068E8: 7E5402FF 42FE0000
	v_mul_f32_e32 v22, v42, v22                                // 0000000068F0: 0A2C2D2A
	v_mul_f32_e32 v23, v42, v23                                // 0000000068F4: 0A2E2F2A
	v_mul_f32_e32 v128, v22, v128                              // 0000000068F8: 0B010116
	v_mul_f32_e32 v129, v22, v129                              // 0000000068FC: 0B030316
	v_mul_f32_e32 v130, v22, v130                              // 000000006900: 0B050516
	v_mul_f32_e32 v131, v22, v131                              // 000000006904: 0B070716
	v_cvt_i32_f32_e32 v128, v128                               // 000000006908: 7F001180
	v_cvt_i32_f32_e32 v129, v129                               // 00000000690C: 7F021181
	v_cvt_i32_f32_e32 v130, v130                               // 000000006910: 7F041182
	v_cvt_i32_f32_e32 v131, v131                               // 000000006914: 7F061183
	v_perm_b32 v128, v129, v128, s53                           // 000000006918: D1ED0080 00D70181
	v_perm_b32 v128, v130, v128, s54                           // 000000006920: D1ED0080 00DB0182
	v_perm_b32 v128, v131, v128, s55                           // 000000006928: D1ED0080 00DF0183
	v_mul_f32_e32 v132, v23, v132                              // 000000006930: 0B090917
	v_mul_f32_e32 v133, v23, v133                              // 000000006934: 0B0B0B17
	v_mul_f32_e32 v134, v23, v134                              // 000000006938: 0B0D0D17
	v_mul_f32_e32 v135, v23, v135                              // 00000000693C: 0B0F0F17
	v_cvt_i32_f32_e32 v132, v132                               // 000000006940: 7F081184
	v_cvt_i32_f32_e32 v133, v133                               // 000000006944: 7F0A1185
	v_cvt_i32_f32_e32 v134, v134                               // 000000006948: 7F0C1186
	v_cvt_i32_f32_e32 v135, v135                               // 00000000694C: 7F0E1187
	v_perm_b32 v129, v133, v132, s53                           // 000000006950: D1ED0081 00D70985
	v_perm_b32 v129, v134, v129, s54                           // 000000006958: D1ED0081 00DB0386
	v_perm_b32 v129, v135, v129, s55                           // 000000006960: D1ED0081 00DF0387
	v_mul_f32_e32 v136, v22, v136                              // 000000006968: 0B111116
	v_mul_f32_e32 v137, v22, v137                              // 00000000696C: 0B131316
	v_mul_f32_e32 v138, v22, v138                              // 000000006970: 0B151516
	v_mul_f32_e32 v139, v22, v139                              // 000000006974: 0B171716
	v_cvt_i32_f32_e32 v136, v136                               // 000000006978: 7F101188
	v_cvt_i32_f32_e32 v137, v137                               // 00000000697C: 7F121189
	v_cvt_i32_f32_e32 v138, v138                               // 000000006980: 7F14118A
	v_cvt_i32_f32_e32 v139, v139                               // 000000006984: 7F16118B
	v_perm_b32 v130, v137, v136, s53                           // 000000006988: D1ED0082 00D71189
	v_perm_b32 v130, v138, v130, s54                           // 000000006990: D1ED0082 00DB058A
	v_perm_b32 v130, v139, v130, s55                           // 000000006998: D1ED0082 00DF058B
	v_mul_f32_e32 v140, v23, v140                              // 0000000069A0: 0B191917
	v_mul_f32_e32 v141, v23, v141                              // 0000000069A4: 0B1B1B17
	v_mul_f32_e32 v142, v23, v142                              // 0000000069A8: 0B1D1D17
	v_mul_f32_e32 v143, v23, v143                              // 0000000069AC: 0B1F1F17
	v_cvt_i32_f32_e32 v140, v140                               // 0000000069B0: 7F18118C
	v_cvt_i32_f32_e32 v141, v141                               // 0000000069B4: 7F1A118D
	v_cvt_i32_f32_e32 v142, v142                               // 0000000069B8: 7F1C118E
	v_cvt_i32_f32_e32 v143, v143                               // 0000000069BC: 7F1E118F
	v_perm_b32 v131, v141, v140, s53                           // 0000000069C0: D1ED0083 00D7198D
	v_perm_b32 v131, v142, v131, s54                           // 0000000069C8: D1ED0083 00DB078E
	v_perm_b32 v131, v143, v131, s55                           // 0000000069D0: D1ED0083 00DF078F
	v_mul_f32_e32 v144, v22, v144                              // 0000000069D8: 0B212116
	v_mul_f32_e32 v145, v22, v145                              // 0000000069DC: 0B232316
	v_mul_f32_e32 v146, v22, v146                              // 0000000069E0: 0B252516
	v_mul_f32_e32 v147, v22, v147                              // 0000000069E4: 0B272716
	v_cvt_i32_f32_e32 v144, v144                               // 0000000069E8: 7F201190
	v_cvt_i32_f32_e32 v145, v145                               // 0000000069EC: 7F221191
	v_cvt_i32_f32_e32 v146, v146                               // 0000000069F0: 7F241192
	v_cvt_i32_f32_e32 v147, v147                               // 0000000069F4: 7F261193
	v_perm_b32 v132, v145, v144, s53                           // 0000000069F8: D1ED0084 00D72191
	v_perm_b32 v132, v146, v132, s54                           // 000000006A00: D1ED0084 00DB0992
	v_perm_b32 v132, v147, v132, s55                           // 000000006A08: D1ED0084 00DF0993
	v_mul_f32_e32 v148, v23, v148                              // 000000006A10: 0B292917
	v_mul_f32_e32 v149, v23, v149                              // 000000006A14: 0B2B2B17
	v_mul_f32_e32 v150, v23, v150                              // 000000006A18: 0B2D2D17
	v_mul_f32_e32 v151, v23, v151                              // 000000006A1C: 0B2F2F17
	v_cvt_i32_f32_e32 v148, v148                               // 000000006A20: 7F281194
	v_cvt_i32_f32_e32 v149, v149                               // 000000006A24: 7F2A1195
	v_cvt_i32_f32_e32 v150, v150                               // 000000006A28: 7F2C1196
	v_cvt_i32_f32_e32 v151, v151                               // 000000006A2C: 7F2E1197
	v_perm_b32 v133, v149, v148, s53                           // 000000006A30: D1ED0085 00D72995
	v_perm_b32 v133, v150, v133, s54                           // 000000006A38: D1ED0085 00DB0B96
	v_perm_b32 v133, v151, v133, s55                           // 000000006A40: D1ED0085 00DF0B97
	v_mul_f32_e32 v152, v22, v152                              // 000000006A48: 0B313116
	v_mul_f32_e32 v153, v22, v153                              // 000000006A4C: 0B333316
	v_mul_f32_e32 v154, v22, v154                              // 000000006A50: 0B353516
	v_mul_f32_e32 v155, v22, v155                              // 000000006A54: 0B373716
	v_cvt_i32_f32_e32 v152, v152                               // 000000006A58: 7F301198
	v_cvt_i32_f32_e32 v153, v153                               // 000000006A5C: 7F321199
	v_cvt_i32_f32_e32 v154, v154                               // 000000006A60: 7F34119A
	v_cvt_i32_f32_e32 v155, v155                               // 000000006A64: 7F36119B
	v_perm_b32 v134, v153, v152, s53                           // 000000006A68: D1ED0086 00D73199
	v_perm_b32 v134, v154, v134, s54                           // 000000006A70: D1ED0086 00DB0D9A
	v_perm_b32 v134, v155, v134, s55                           // 000000006A78: D1ED0086 00DF0D9B
	v_mul_f32_e32 v156, v23, v156                              // 000000006A80: 0B393917
	v_mul_f32_e32 v157, v23, v157                              // 000000006A84: 0B3B3B17
	v_mul_f32_e32 v158, v23, v158                              // 000000006A88: 0B3D3D17
	v_mul_f32_e32 v159, v23, v159                              // 000000006A8C: 0B3F3F17
	v_cvt_i32_f32_e32 v156, v156                               // 000000006A90: 7F38119C
	v_cvt_i32_f32_e32 v157, v157                               // 000000006A94: 7F3A119D
	v_cvt_i32_f32_e32 v158, v158                               // 000000006A98: 7F3C119E
	v_cvt_i32_f32_e32 v159, v159                               // 000000006A9C: 7F3E119F
	v_perm_b32 v135, v157, v156, s53                           // 000000006AA0: D1ED0087 00D7399D
	v_perm_b32 v135, v158, v135, s54                           // 000000006AA8: D1ED0087 00DB0F9E
	v_perm_b32 v135, v159, v135, s55                           // 000000006AB0: D1ED0087 00DF0F9F
	v_mul_f32_e32 v160, v22, v160                              // 000000006AB8: 0B414116
	v_mul_f32_e32 v161, v22, v161                              // 000000006ABC: 0B434316
	v_mul_f32_e32 v162, v22, v162                              // 000000006AC0: 0B454516
	v_mul_f32_e32 v163, v22, v163                              // 000000006AC4: 0B474716
	v_cvt_i32_f32_e32 v160, v160                               // 000000006AC8: 7F4011A0
	v_cvt_i32_f32_e32 v161, v161                               // 000000006ACC: 7F4211A1
	v_cvt_i32_f32_e32 v162, v162                               // 000000006AD0: 7F4411A2
	v_cvt_i32_f32_e32 v163, v163                               // 000000006AD4: 7F4611A3
	v_perm_b32 v136, v161, v160, s53                           // 000000006AD8: D1ED0088 00D741A1
	v_perm_b32 v136, v162, v136, s54                           // 000000006AE0: D1ED0088 00DB11A2
	v_perm_b32 v136, v163, v136, s55                           // 000000006AE8: D1ED0088 00DF11A3
	v_mul_f32_e32 v164, v23, v164                              // 000000006AF0: 0B494917
	v_mul_f32_e32 v165, v23, v165                              // 000000006AF4: 0B4B4B17
	v_mul_f32_e32 v166, v23, v166                              // 000000006AF8: 0B4D4D17
	v_mul_f32_e32 v167, v23, v167                              // 000000006AFC: 0B4F4F17
	v_cvt_i32_f32_e32 v164, v164                               // 000000006B00: 7F4811A4
	v_cvt_i32_f32_e32 v165, v165                               // 000000006B04: 7F4A11A5
	v_cvt_i32_f32_e32 v166, v166                               // 000000006B08: 7F4C11A6
	v_cvt_i32_f32_e32 v167, v167                               // 000000006B0C: 7F4E11A7
	v_perm_b32 v137, v165, v164, s53                           // 000000006B10: D1ED0089 00D749A5
	v_perm_b32 v137, v166, v137, s54                           // 000000006B18: D1ED0089 00DB13A6
	v_perm_b32 v137, v167, v137, s55                           // 000000006B20: D1ED0089 00DF13A7
	v_rcp_f32_e32 v24, v22                                     // 000000006B28: 7E304516
	v_rcp_f32_e32 v25, v23                                     // 000000006B2C: 7E324517
	v_lshrrev_b32_e32 v42, 5, v0                               // 000000006B30: 20540085
	v_lshlrev_b32_e32 v43, 5, v42                              // 000000006B34: 24565485
	v_and_b32_e32 v42, 31, v0                                  // 000000006B38: 2654009F
	v_lshrrev_b32_e32 v44, 4, v42                              // 000000006B3C: 20585484
	v_add_u32_e32 v43, v44, v43                                // 000000006B40: 6856572C
	v_and_b32_e32 v42, 15, v0                                  // 000000006B44: 2654008F
	v_lshlrev_b32_e32 v42, 1, v42                              // 000000006B48: 24545481
	v_add_u32_e32 v43, v42, v43                                // 000000006B4C: 6856572A
	v_lshlrev_b32_e32 v42, 2, v43                              // 000000006B50: 24545682
	s_mul_i32 s60, 0x100, s5                                   // 000000006B54: 923C05FF 00000100
	v_add_u32_e64 v42, v42, s60                                // 000000006B5C: D134002A 0000792A
	ds_write_b32 v42, v128 offset:2048                         // 000000006B64: D81A0800 0000802A
	ds_write_b32 v42, v129 offset:7168                         // 000000006B6C: D81A1C00 0000812A
	ds_write_b32 v42, v130 offset:3072                         // 000000006B74: D81A0C00 0000822A
	ds_write_b32 v42, v131 offset:8192                         // 000000006B7C: D81A2000 0000832A
	ds_write_b32 v42, v132 offset:4096                         // 000000006B84: D81A1000 0000842A
	ds_write_b32 v42, v133 offset:9216                         // 000000006B8C: D81A2400 0000852A
	ds_write_b32 v42, v134 offset:5120                         // 000000006B94: D81A1400 0000862A
	ds_write_b32 v42, v135 offset:10240                        // 000000006B9C: D81A2800 0000872A
	ds_write_b32 v42, v136 offset:6144                         // 000000006BA4: D81A1800 0000882A
	ds_write_b32 v42, v137 offset:11264                        // 000000006BAC: D81A2C00 0000892A
	s_waitcnt lgkmcnt(0)                                       // 000000006BB4: BF8CC07F
	s_barrier                                                  // 000000006BB8: BF8A0000
	v_lshrrev_b32_e32 v42, 4, v0                               // 000000006BBC: 20540084
	v_lshlrev_b32_e32 v43, 6, v42                              // 000000006BC0: 24565486
	v_and_b32_e32 v42, 15, v0                                  // 000000006BC4: 2654008F
	v_lshlrev_b32_e32 v42, 1, v42                              // 000000006BC8: 24545481
	v_add_u32_e32 v43, v42, v43                                // 000000006BCC: 6856572A
	v_lshlrev_b32_e32 v42, 2, v43                              // 000000006BD0: 24545682
	ds_read_b64 v[128:129], v42 offset:2048                    // 000000006BD4: D8EC0800 8000002A
	ds_read_b64 v[130:131], v42 offset:2176                    // 000000006BDC: D8EC0880 8200002A
	ds_read_b64 v[132:133], v42 offset:3072                    // 000000006BE4: D8EC0C00 8400002A
	ds_read_b64 v[134:135], v42 offset:3200                    // 000000006BEC: D8EC0C80 8600002A
	ds_read_b64 v[136:137], v42 offset:4096                    // 000000006BF4: D8EC1000 8800002A
	ds_read_b64 v[138:139], v42 offset:4224                    // 000000006BFC: D8EC1080 8A00002A
	ds_read_b64 v[140:141], v42 offset:5120                    // 000000006C04: D8EC1400 8C00002A
	ds_read_b64 v[142:143], v42 offset:5248                    // 000000006C0C: D8EC1480 8E00002A
	ds_read_b64 v[144:145], v42 offset:6144                    // 000000006C14: D8EC1800 9000002A
	ds_read_b64 v[146:147], v42 offset:6272                    // 000000006C1C: D8EC1880 9200002A
	ds_read_b64 v[148:149], v42 offset:7168                    // 000000006C24: D8EC1C00 9400002A
	ds_read_b64 v[150:151], v42 offset:7296                    // 000000006C2C: D8EC1C80 9600002A
	ds_read_b64 v[152:153], v42 offset:8192                    // 000000006C34: D8EC2000 9800002A
	ds_read_b64 v[154:155], v42 offset:8320                    // 000000006C3C: D8EC2080 9A00002A
	ds_read_b64 v[156:157], v42 offset:9216                    // 000000006C44: D8EC2400 9C00002A
	ds_read_b64 v[158:159], v42 offset:9344                    // 000000006C4C: D8EC2480 9E00002A
	ds_read_b64 v[160:161], v42 offset:10240                   // 000000006C54: D8EC2800 A000002A
	ds_read_b64 v[162:163], v42 offset:10368                   // 000000006C5C: D8EC2880 A200002A
	ds_read_b64 v[164:165], v42 offset:11264                   // 000000006C64: D8EC2C00 A400002A
	ds_read_b64 v[166:167], v42 offset:11392                   // 000000006C6C: D8EC2C80 A600002A
	s_add_u32 s12, s56, s12                                    // 000000006C74: 800C0C38
	s_addc_u32 s13, 0, s13                                     // 000000006C78: 820D0D80
	s_add_u32 s16, s79, s16                                    // 000000006C7C: 8010104F
	s_addc_u32 s17, 0, s17                                     // 000000006C80: 82111180
	s_waitcnt lgkmcnt(0)                                       // 000000006C84: BF8CC07F
	s_barrier                                                  // 000000006C88: BF8A0000
	v_mov_b32_e32 v168, 0                                      // 000000006C8C: 7F500280
	v_mov_b32_e32 v200, 0                                      // 000000006C90: 7F900280
	v_mov_b32_e32 v169, 0                                      // 000000006C94: 7F520280
	v_mov_b32_e32 v201, 0                                      // 000000006C98: 7F920280
	v_mov_b32_e32 v170, 0                                      // 000000006C9C: 7F540280
	v_mov_b32_e32 v202, 0                                      // 000000006CA0: 7F940280
	v_mov_b32_e32 v171, 0                                      // 000000006CA4: 7F560280
	v_mov_b32_e32 v203, 0                                      // 000000006CA8: 7F960280
	v_mov_b32_e32 v172, 0                                      // 000000006CAC: 7F580280
	v_mov_b32_e32 v204, 0                                      // 000000006CB0: 7F980280
	v_mov_b32_e32 v173, 0                                      // 000000006CB4: 7F5A0280
	v_mov_b32_e32 v205, 0                                      // 000000006CB8: 7F9A0280
	v_mov_b32_e32 v174, 0                                      // 000000006CBC: 7F5C0280
	v_mov_b32_e32 v206, 0                                      // 000000006CC0: 7F9C0280
	v_mov_b32_e32 v175, 0                                      // 000000006CC4: 7F5E0280
	v_mov_b32_e32 v207, 0                                      // 000000006CC8: 7F9E0280
	v_mov_b32_e32 v176, 0                                      // 000000006CCC: 7F600280
	v_mov_b32_e32 v208, 0                                      // 000000006CD0: 7FA00280
	v_mov_b32_e32 v177, 0                                      // 000000006CD4: 7F620280
	v_mov_b32_e32 v209, 0                                      // 000000006CD8: 7FA20280
	v_mov_b32_e32 v178, 0                                      // 000000006CDC: 7F640280
	v_mov_b32_e32 v210, 0                                      // 000000006CE0: 7FA40280
	v_mov_b32_e32 v179, 0                                      // 000000006CE4: 7F660280
	v_mov_b32_e32 v211, 0                                      // 000000006CE8: 7FA60280
	v_mov_b32_e32 v180, 0                                      // 000000006CEC: 7F680280
	v_mov_b32_e32 v212, 0                                      // 000000006CF0: 7FA80280
	v_mov_b32_e32 v181, 0                                      // 000000006CF4: 7F6A0280
	v_mov_b32_e32 v213, 0                                      // 000000006CF8: 7FAA0280
	v_mov_b32_e32 v182, 0                                      // 000000006CFC: 7F6C0280
	v_mov_b32_e32 v214, 0                                      // 000000006D00: 7FAC0280
	v_mov_b32_e32 v183, 0                                      // 000000006D04: 7F6E0280
	v_mov_b32_e32 v215, 0                                      // 000000006D08: 7FAE0280
	ds_write_b64 v3, v[168:169] offset:2048                    // 000000006D0C: D89A0800 0000A803
	ds_write_b64 v3, v[170:171] offset:10752                   // 000000006D14: D89A2A00 0000AA03
	ds_write_b64 v3, v[172:173] offset:4224                    // 000000006D1C: D89A1080 0000AC03
	ds_write_b64 v3, v[174:175] offset:12928                   // 000000006D24: D89A3280 0000AE03
	ds_write_b64 v3, v[176:177] offset:6400                    // 000000006D2C: D89A1900 0000B003
	ds_write_b64 v3, v[178:179] offset:15104                   // 000000006D34: D89A3B00 0000B203
	ds_write_b64 v3, v[180:181] offset:8576                    // 000000006D3C: D89A2180 0000B403
	ds_write_b64 v3, v[182:183] offset:17280                   // 000000006D44: D89A4380 0000B603
	s_mov_b32 s80, 0                                           // 000000006D4C: BED00080
	s_waitcnt vmcnt(0) expcnt(0) lgkmcnt(0)                    // 000000006D50: BF8C0000

0000000000006d54 <label_1095>:
	s_waitcnt vmcnt(17) lgkmcnt(0)                             // 000000006D54: BF8C4071
	s_barrier                                                  // 000000006D58: BF8A0000
	v_mfma_i32_16x16x32_i8 v[168:171], a[0:1], v[128:129], 0   // 000000006D5C: D3D700A8 0A030100
	ds_read_b32 v64, v4 offset:2048                            // 000000006D64: D86C0800 40000004
	ds_read_b32 v65, v4 offset:6400                            // 000000006D6C: D86C1900 41000004
	v_mfma_i32_16x16x32_i8 v[168:171], a[2:3], v[130:131], v[168:171]// 000000006D74: D3D700A8 0EA30502
	buffer_load_dwordx4 a[80:83], v46, s[12:15], 0 offen       // 000000006D7C: E05C1000 8083502E
	v_mfma_i32_16x16x32_i8 v[172:175], a[0:1], v[148:149], 0   // 000000006D84: D3D700AC 0A032900
	ds_read_b32 v66, v4 offset:2080                            // 000000006D8C: D86C0820 42000004
	ds_read_b32 v67, v4 offset:6432                            // 000000006D94: D86C1920 43000004
	v_mfma_i32_16x16x32_i8 v[172:175], a[2:3], v[150:151], v[172:175]// 000000006D9C: D3D700AC 0EB32D02
	v_mfma_i32_16x16x32_i8 v[176:179], a[4:5], v[128:129], 0   // 000000006DA4: D3D700B0 0A030104
	ds_read_b32 v68, v4 offset:2112                            // 000000006DAC: D86C0840 44000004
	ds_read_b32 v69, v4 offset:6464                            // 000000006DB4: D86C1940 45000004
	v_mfma_i32_16x16x32_i8 v[176:179], a[6:7], v[130:131], v[176:179]// 000000006DBC: D3D700B0 0EC30506
	buffer_load_dwordx4 a[84:87], v47, s[12:15], 0 offen       // 000000006DC4: E05C1000 8083542F
	v_mfma_i32_16x16x32_i8 v[180:183], a[4:5], v[148:149], 0   // 000000006DCC: D3D700B4 0A032904
	ds_read_b32 v70, v4 offset:2144                            // 000000006DD4: D86C0860 46000004
	ds_read_b32 v71, v4 offset:6496                            // 000000006DDC: D86C1960 47000004
	v_mfma_i32_16x16x32_i8 v[180:183], a[6:7], v[150:151], v[180:183]// 000000006DE4: D3D700B4 0ED32D06
	v_mfma_i32_16x16x32_i8 v[184:187], a[8:9], v[128:129], 0   // 000000006DEC: D3D700B8 0A030108
	ds_read_b32 v72, v4 offset:10752                           // 000000006DF4: D86C2A00 48000004
	ds_read_b32 v73, v4 offset:15104                           // 000000006DFC: D86C3B00 49000004
	v_mfma_i32_16x16x32_i8 v[184:187], a[10:11], v[130:131], v[184:187]// 000000006E04: D3D700B8 0EE3050A
	buffer_load_dwordx4 a[88:91], v48, s[12:15], 0 offen       // 000000006E0C: E05C1000 80835830
	v_mfma_i32_16x16x32_i8 v[188:191], a[8:9], v[148:149], 0   // 000000006E14: D3D700BC 0A032908
	ds_read_b32 v74, v4 offset:10784                           // 000000006E1C: D86C2A20 4A000004
	ds_read_b32 v75, v4 offset:15136                           // 000000006E24: D86C3B20 4B000004
	v_mfma_i32_16x16x32_i8 v[188:191], a[10:11], v[150:151], v[188:191]// 000000006E2C: D3D700BC 0EF32D0A
	v_mfma_i32_16x16x32_i8 v[192:195], a[12:13], v[128:129], 0 // 000000006E34: D3D700C0 0A03010C
	ds_read_b32 v76, v4 offset:10816                           // 000000006E3C: D86C2A40 4C000004
	ds_read_b32 v77, v4 offset:15168                           // 000000006E44: D86C3B40 4D000004
	v_mfma_i32_16x16x32_i8 v[192:195], a[14:15], v[130:131], v[192:195]// 000000006E4C: D3D700C0 0F03050E
	buffer_load_dwordx4 a[92:95], v49, s[12:15], 0 offen       // 000000006E54: E05C1000 80835C31
	s_add_u32 s12, s78, s12                                    // 000000006E5C: 800C0C4E
	s_addc_u32 s13, 0, s13                                     // 000000006E60: 820D0D80
	v_mfma_i32_16x16x32_i8 v[196:199], a[12:13], v[148:149], 0 // 000000006E64: D3D700C4 0A03290C
	ds_read_b32 v78, v4 offset:10848                           // 000000006E6C: D86C2A60 4E000004
	ds_read_b32 v79, v4 offset:15200                           // 000000006E74: D86C3B60 4F000004
	v_mfma_i32_16x16x32_i8 v[196:199], a[14:15], v[150:151], v[196:199]// 000000006E7C: D3D700C4 0F132D0E
	s_waitcnt vmcnt(17)                                        // 000000006E84: BF8C4F71
	v_mfma_i32_16x16x32_i8 v[168:171], a[16:17], v[132:133], v[168:171]// 000000006E88: D3D700A8 0EA30910
	v_mfma_i32_16x16x32_i8 v[168:171], a[18:19], v[134:135], v[168:171]// 000000006E90: D3D700A8 0EA30D12
	buffer_load_dwordx4 a[96:99], v46, s[12:15], 0 offen       // 000000006E98: E05C1000 8083602E
	v_mfma_i32_16x16x32_i8 v[172:175], a[16:17], v[152:153], v[172:175]// 000000006EA0: D3D700AC 0EB33110
	v_mfma_i32_16x16x32_i8 v[172:175], a[18:19], v[154:155], v[172:175]// 000000006EA8: D3D700AC 0EB33512
	v_mfma_i32_16x16x32_i8 v[176:179], a[20:21], v[132:133], v[176:179]// 000000006EB0: D3D700B0 0EC30914
	v_mfma_i32_16x16x32_i8 v[176:179], a[22:23], v[134:135], v[176:179]// 000000006EB8: D3D700B0 0EC30D16
	buffer_load_dwordx4 a[100:103], v47, s[12:15], 0 offen     // 000000006EC0: E05C1000 8083642F
	v_mfma_i32_16x16x32_i8 v[180:183], a[20:21], v[152:153], v[180:183]// 000000006EC8: D3D700B4 0ED33114
	v_mfma_i32_16x16x32_i8 v[180:183], a[22:23], v[154:155], v[180:183]// 000000006ED0: D3D700B4 0ED33516
	v_mfma_i32_16x16x32_i8 v[184:187], a[24:25], v[132:133], v[184:187]// 000000006ED8: D3D700B8 0EE30918
	v_mfma_i32_16x16x32_i8 v[184:187], a[26:27], v[134:135], v[184:187]// 000000006EE0: D3D700B8 0EE30D1A
	buffer_load_dwordx4 a[104:107], v48, s[12:15], 0 offen     // 000000006EE8: E05C1000 80836830
	v_mfma_i32_16x16x32_i8 v[188:191], a[24:25], v[152:153], v[188:191]// 000000006EF0: D3D700BC 0EF33118
	v_mfma_i32_16x16x32_i8 v[188:191], a[26:27], v[154:155], v[188:191]// 000000006EF8: D3D700BC 0EF3351A
	v_mfma_i32_16x16x32_i8 v[192:195], a[28:29], v[132:133], v[192:195]// 000000006F00: D3D700C0 0F03091C
	v_mfma_i32_16x16x32_i8 v[192:195], a[30:31], v[134:135], v[192:195]// 000000006F08: D3D700C0 0F030D1E
	buffer_load_dwordx4 a[108:111], v49, s[12:15], 0 offen     // 000000006F10: E05C1000 80836C31
	s_add_u32 s12, s78, s12                                    // 000000006F18: 800C0C4E
	s_addc_u32 s13, 0, s13                                     // 000000006F1C: 820D0D80
	v_mfma_i32_16x16x32_i8 v[196:199], a[28:29], v[152:153], v[196:199]// 000000006F20: D3D700C4 0F13311C
	v_mfma_i32_16x16x32_i8 v[196:199], a[30:31], v[154:155], v[196:199]// 000000006F28: D3D700C4 0F13351E
	s_waitcnt vmcnt(17)                                        // 000000006F30: BF8C4F71
	v_mfma_i32_16x16x32_i8 v[168:171], a[32:33], v[136:137], v[168:171]// 000000006F34: D3D700A8 0EA31120
	ds_write_b64 v3, v[200:201] offset:19456                   // 000000006F3C: D89A4C00 0000C803
	v_mfma_i32_16x16x32_i8 v[168:171], a[34:35], v[138:139], v[168:171]// 000000006F44: D3D700A8 0EA31522
	buffer_load_dwordx4 a[112:115], v46, s[12:15], 0 offen     // 000000006F4C: E05C1000 8083702E
	v_mfma_i32_16x16x32_i8 v[172:175], a[32:33], v[156:157], v[172:175]// 000000006F54: D3D700AC 0EB33920
	ds_write_b64 v3, v[202:203] offset:28160                   // 000000006F5C: D89A6E00 0000CA03
	v_mfma_i32_16x16x32_i8 v[172:175], a[34:35], v[158:159], v[172:175]// 000000006F64: D3D700AC 0EB33D22
	v_mfma_i32_16x16x32_i8 v[176:179], a[36:37], v[136:137], v[176:179]// 000000006F6C: D3D700B0 0EC31124
	ds_write_b64 v3, v[204:205] offset:21632                   // 000000006F74: D89A5480 0000CC03
	v_mfma_i32_16x16x32_i8 v[176:179], a[38:39], v[138:139], v[176:179]// 000000006F7C: D3D700B0 0EC31526
	buffer_load_dwordx4 a[116:119], v47, s[12:15], 0 offen     // 000000006F84: E05C1000 8083742F
	v_mfma_i32_16x16x32_i8 v[180:183], a[36:37], v[156:157], v[180:183]// 000000006F8C: D3D700B4 0ED33924
	ds_write_b64 v3, v[206:207] offset:30336                   // 000000006F94: D89A7680 0000CE03
	v_mfma_i32_16x16x32_i8 v[180:183], a[38:39], v[158:159], v[180:183]// 000000006F9C: D3D700B4 0ED33D26
	v_mfma_i32_16x16x32_i8 v[184:187], a[40:41], v[136:137], v[184:187]// 000000006FA4: D3D700B8 0EE31128
	ds_write_b64 v3, v[208:209] offset:23808                   // 000000006FAC: D89A5D00 0000D003
	v_mfma_i32_16x16x32_i8 v[184:187], a[42:43], v[138:139], v[184:187]// 000000006FB4: D3D700B8 0EE3152A
	buffer_load_dwordx4 a[120:123], v48, s[12:15], 0 offen     // 000000006FBC: E05C1000 80837830
	v_mfma_i32_16x16x32_i8 v[188:191], a[40:41], v[156:157], v[188:191]// 000000006FC4: D3D700BC 0EF33928
	ds_write_b64 v3, v[210:211] offset:32512                   // 000000006FCC: D89A7F00 0000D203
	v_mfma_i32_16x16x32_i8 v[188:191], a[42:43], v[158:159], v[188:191]// 000000006FD4: D3D700BC 0EF33D2A
	v_mfma_i32_16x16x32_i8 v[192:195], a[44:45], v[136:137], v[192:195]// 000000006FDC: D3D700C0 0F03112C
	ds_write_b64 v3, v[212:213] offset:25984                   // 000000006FE4: D89A6580 0000D403
	v_mfma_i32_16x16x32_i8 v[192:195], a[46:47], v[138:139], v[192:195]// 000000006FEC: D3D700C0 0F03152E
	buffer_load_dwordx4 a[124:127], v49, s[12:15], 0 offen     // 000000006FF4: E05C1000 80837C31
	s_add_u32 s12, s78, s12                                    // 000000006FFC: 800C0C4E
	s_addc_u32 s13, 0, s13                                     // 000000007000: 820D0D80
	v_mfma_i32_16x16x32_i8 v[196:199], a[44:45], v[156:157], v[196:199]// 000000007004: D3D700C4 0F13392C
	ds_write_b64 v3, v[214:215] offset:34688                   // 00000000700C: D89A8780 0000D603
	v_mfma_i32_16x16x32_i8 v[196:199], a[46:47], v[158:159], v[196:199]// 000000007014: D3D700C4 0F133D2E
	s_waitcnt vmcnt(17)                                        // 00000000701C: BF8C4F71
	v_mfma_i32_16x16x32_i8 v[168:171], a[48:49], v[140:141], v[168:171]// 000000007020: D3D700A8 0EA31930
	v_mfma_i32_16x16x32_i8 v[168:171], a[50:51], v[142:143], v[168:171]// 000000007028: D3D700A8 0EA31D32
	buffer_load_dwordx4 a[128:131], v46, s[12:15], 0 offen     // 000000007030: E05C1000 8083802E
	v_mfma_i32_16x16x32_i8 v[172:175], a[48:49], v[160:161], v[172:175]// 000000007038: D3D700AC 0EB34130
	v_mfma_i32_16x16x32_i8 v[172:175], a[50:51], v[162:163], v[172:175]// 000000007040: D3D700AC 0EB34532
	v_mfma_i32_16x16x32_i8 v[176:179], a[52:53], v[140:141], v[176:179]// 000000007048: D3D700B0 0EC31934
	v_mfma_i32_16x16x32_i8 v[176:179], a[54:55], v[142:143], v[176:179]// 000000007050: D3D700B0 0EC31D36
	buffer_load_dwordx4 a[132:135], v47, s[12:15], 0 offen     // 000000007058: E05C1000 8083842F
	v_mfma_i32_16x16x32_i8 v[180:183], a[52:53], v[160:161], v[180:183]// 000000007060: D3D700B4 0ED34134
	v_mfma_i32_16x16x32_i8 v[180:183], a[54:55], v[162:163], v[180:183]// 000000007068: D3D700B4 0ED34536
	v_mfma_i32_16x16x32_i8 v[184:187], a[56:57], v[140:141], v[184:187]// 000000007070: D3D700B8 0EE31938
	v_mfma_i32_16x16x32_i8 v[184:187], a[58:59], v[142:143], v[184:187]// 000000007078: D3D700B8 0EE31D3A
	buffer_load_dwordx4 a[136:139], v48, s[12:15], 0 offen     // 000000007080: E05C1000 80838830
	v_mfma_i32_16x16x32_i8 v[188:191], a[56:57], v[160:161], v[188:191]// 000000007088: D3D700BC 0EF34138
	v_mfma_i32_16x16x32_i8 v[188:191], a[58:59], v[162:163], v[188:191]// 000000007090: D3D700BC 0EF3453A
	v_mfma_i32_16x16x32_i8 v[192:195], a[60:61], v[140:141], v[192:195]// 000000007098: D3D700C0 0F03193C
	v_mfma_i32_16x16x32_i8 v[192:195], a[62:63], v[142:143], v[192:195]// 0000000070A0: D3D700C0 0F031D3E
	buffer_load_dwordx4 a[140:143], v49, s[12:15], 0 offen     // 0000000070A8: E05C1000 80838C31
	s_add_u32 s12, s78, s12                                    // 0000000070B0: 800C0C4E
	s_addc_u32 s13, 0, s13                                     // 0000000070B4: 820D0D80
	v_mfma_i32_16x16x32_i8 v[196:199], a[60:61], v[160:161], v[196:199]// 0000000070B8: D3D700C4 0F13413C
	v_mfma_i32_16x16x32_i8 v[196:199], a[62:63], v[162:163], v[196:199]// 0000000070C0: D3D700C4 0F13453E
	s_waitcnt vmcnt(16)                                        // 0000000070C8: BF8C4F70
	v_mfma_i32_16x16x32_i8 v[168:171], a[64:65], v[144:145], v[168:171]// 0000000070CC: D3D700A8 0EA32140
	v_mfma_i32_16x16x32_i8 v[168:171], a[66:67], v[146:147], v[168:171]// 0000000070D4: D3D700A8 0EA32542
	buffer_load_dwordx4 a[144:147], v46, s[12:15], 0 offen     // 0000000070DC: E05C1000 8083902E
	v_mfma_i32_16x16x32_i8 v[172:175], a[64:65], v[164:165], v[172:175]// 0000000070E4: D3D700AC 0EB34940
	v_mfma_i32_16x16x32_i8 v[172:175], a[66:67], v[166:167], v[172:175]// 0000000070EC: D3D700AC 0EB34D42
	buffer_load_dword v13, v5, s[16:19], 0 offen               // 0000000070F4: E0501000 80040D05
	v_mfma_i32_16x16x32_i8 v[176:179], a[68:69], v[144:145], v[176:179]// 0000000070FC: D3D700B0 0EC32144
	v_mfma_i32_16x16x32_i8 v[176:179], a[70:71], v[146:147], v[176:179]// 000000007104: D3D700B0 0EC32546
	buffer_load_dwordx4 a[148:151], v47, s[12:15], 0 offen     // 00000000710C: E05C1000 8083942F
	v_mfma_i32_16x16x32_i8 v[180:183], a[68:69], v[164:165], v[180:183]// 000000007114: D3D700B4 0ED34944
	v_mfma_i32_16x16x32_i8 v[180:183], a[70:71], v[166:167], v[180:183]// 00000000711C: D3D700B4 0ED34D46
	v_mfma_i32_16x16x32_i8 v[184:187], a[72:73], v[144:145], v[184:187]// 000000007124: D3D700B8 0EE32148
	v_mfma_i32_16x16x32_i8 v[184:187], a[74:75], v[146:147], v[184:187]// 00000000712C: D3D700B8 0EE3254A
	buffer_load_dwordx4 a[152:155], v48, s[12:15], 0 offen     // 000000007134: E05C1000 80839830
	v_mfma_i32_16x16x32_i8 v[188:191], a[72:73], v[164:165], v[188:191]// 00000000713C: D3D700BC 0EF34948
	v_mfma_i32_16x16x32_i8 v[188:191], a[74:75], v[166:167], v[188:191]// 000000007144: D3D700BC 0EF34D4A
	v_mfma_i32_16x16x32_i8 v[192:195], a[76:77], v[144:145], v[192:195]// 00000000714C: D3D700C0 0F03214C
	v_mfma_i32_16x16x32_i8 v[192:195], a[78:79], v[146:147], v[192:195]// 000000007154: D3D700C0 0F03254E
	buffer_load_dwordx4 a[156:159], v49, s[12:15], 0 offen     // 00000000715C: E05C1000 80839C31
	v_mfma_i32_16x16x32_i8 v[196:199], a[76:77], v[164:165], v[196:199]// 000000007164: D3D700C4 0F13494C
	v_mfma_i32_16x16x32_i8 v[196:199], a[78:79], v[166:167], v[196:199]// 00000000716C: D3D700C4 0F134D4E
	s_add_u32 s60, 0x200, s80                                  // 000000007174: 803C50FF 00000200
	s_cmp_lt_u32 s60, s81                                      // 00000000717C: BF0A513C
	s_cselect_b32 s56, s56, 0                                  // 000000007180: 85388038
	s_cselect_b32 s78, s78, 0                                  // 000000007184: 854E804E
	s_cselect_b32 s79, s79, 0                                  // 000000007188: 854F804F
	s_add_u32 s12, s56, s12                                    // 00000000718C: 800C0C38
	s_addc_u32 s13, 0, s13                                     // 000000007190: 820D0D80
	s_add_u32 s16, s79, s16                                    // 000000007194: 8010104F
	s_addc_u32 s17, 0, s17                                     // 000000007198: 82111180
	v_mov_b32_e32 v42, v24                                     // 00000000719C: 7E540318
	v_mov_b32_e32 v44, v20                                     // 0000000071A0: 7E580314
	v_mov_b32_e32 v43, v42                                     // 0000000071A4: 7E56032A
	v_mov_b32_e32 v45, v44                                     // 0000000071A8: 7E5A032C
	v_cvt_f32_i32_e32 v168, v168                               // 0000000071AC: 7F500BA8
	v_cvt_f32_i32_e32 v169, v169                               // 0000000071B0: 7F520BA9
	v_cvt_f32_i32_e32 v170, v170                               // 0000000071B4: 7F540BAA
	v_cvt_f32_i32_e32 v171, v171                               // 0000000071B8: 7F560BAB
	v_pk_mul_f32 v[168:169], v[42:43], v[168:169]              // 0000000071BC: D3B140A8 1803512A
	v_pk_mul_f32 v[170:171], v[42:43], v[170:171]              // 0000000071C4: D3B140AA 1803552A
	v_mul_f32_dpp v168, v12, v168 row_newbcast:0 row_mask:0xf bank_mask:0xf// 0000000071CC: 0B5150FA FF01500C
	v_mul_f32_dpp v169, v12, v169 row_newbcast:1 row_mask:0xf bank_mask:0xf// 0000000071D4: 0B5352FA FF01510C
	v_mul_f32_dpp v170, v12, v170 row_newbcast:2 row_mask:0xf bank_mask:0xf// 0000000071DC: 0B5554FA FF01520C
	v_mul_f32_dpp v171, v12, v171 row_newbcast:3 row_mask:0xf bank_mask:0xf// 0000000071E4: 0B5756FA FF01530C
	v_pk_mul_f32 v[168:169], v[44:45], v[168:169]              // 0000000071EC: D3B140A8 1803512C
	v_pk_mul_f32 v[170:171], v[44:45], v[170:171]              // 0000000071F4: D3B140AA 1803552C
	v_cvt_f32_i32_e32 v176, v176                               // 0000000071FC: 7F600BB0
	v_cvt_f32_i32_e32 v177, v177                               // 000000007200: 7F620BB1
	v_cvt_f32_i32_e32 v178, v178                               // 000000007204: 7F640BB2
	v_cvt_f32_i32_e32 v179, v179                               // 000000007208: 7F660BB3
	v_pk_mul_f32 v[176:177], v[42:43], v[176:177]              // 00000000720C: D3B140B0 1803612A
	v_pk_mul_f32 v[178:179], v[42:43], v[178:179]              // 000000007214: D3B140B2 1803652A
	v_mul_f32_dpp v176, v12, v176 row_newbcast:4 row_mask:0xf bank_mask:0xf// 00000000721C: 0B6160FA FF01540C
	v_mul_f32_dpp v177, v12, v177 row_newbcast:5 row_mask:0xf bank_mask:0xf// 000000007224: 0B6362FA FF01550C
	v_mul_f32_dpp v178, v12, v178 row_newbcast:6 row_mask:0xf bank_mask:0xf// 00000000722C: 0B6564FA FF01560C
	v_mul_f32_dpp v179, v12, v179 row_newbcast:7 row_mask:0xf bank_mask:0xf// 000000007234: 0B6766FA FF01570C
	v_pk_mul_f32 v[176:177], v[44:45], v[176:177]              // 00000000723C: D3B140B0 1803612C
	v_pk_mul_f32 v[178:179], v[44:45], v[178:179]              // 000000007244: D3B140B2 1803652C
	v_cvt_f32_i32_e32 v184, v184                               // 00000000724C: 7F700BB8
	v_cvt_f32_i32_e32 v185, v185                               // 000000007250: 7F720BB9
	v_cvt_f32_i32_e32 v186, v186                               // 000000007254: 7F740BBA
	v_cvt_f32_i32_e32 v187, v187                               // 000000007258: 7F760BBB
	v_pk_mul_f32 v[184:185], v[42:43], v[184:185]              // 00000000725C: D3B140B8 1803712A
	v_pk_mul_f32 v[186:187], v[42:43], v[186:187]              // 000000007264: D3B140BA 1803752A
	v_mul_f32_dpp v184, v12, v184 row_newbcast:8 row_mask:0xf bank_mask:0xf// 00000000726C: 0B7170FA FF01580C
	v_mul_f32_dpp v185, v12, v185 row_newbcast:9 row_mask:0xf bank_mask:0xf// 000000007274: 0B7372FA FF01590C
	v_mul_f32_dpp v186, v12, v186 row_newbcast:10 row_mask:0xf bank_mask:0xf// 00000000727C: 0B7574FA FF015A0C
	v_mul_f32_dpp v187, v12, v187 row_newbcast:11 row_mask:0xf bank_mask:0xf// 000000007284: 0B7776FA FF015B0C
	v_pk_mul_f32 v[184:185], v[44:45], v[184:185]              // 00000000728C: D3B140B8 1803712C
	v_pk_mul_f32 v[186:187], v[44:45], v[186:187]              // 000000007294: D3B140BA 1803752C
	v_cvt_f32_i32_e32 v192, v192                               // 00000000729C: 7F800BC0
	v_cvt_f32_i32_e32 v193, v193                               // 0000000072A0: 7F820BC1
	v_cvt_f32_i32_e32 v194, v194                               // 0000000072A4: 7F840BC2
	v_cvt_f32_i32_e32 v195, v195                               // 0000000072A8: 7F860BC3
	v_pk_mul_f32 v[192:193], v[42:43], v[192:193]              // 0000000072AC: D3B140C0 1803812A
	v_pk_mul_f32 v[194:195], v[42:43], v[194:195]              // 0000000072B4: D3B140C2 1803852A
	v_mul_f32_dpp v192, v12, v192 row_newbcast:12 row_mask:0xf bank_mask:0xf// 0000000072BC: 0B8180FA FF015C0C
	v_mul_f32_dpp v193, v12, v193 row_newbcast:13 row_mask:0xf bank_mask:0xf// 0000000072C4: 0B8382FA FF015D0C
	v_mul_f32_dpp v194, v12, v194 row_newbcast:14 row_mask:0xf bank_mask:0xf// 0000000072CC: 0B8584FA FF015E0C
	v_mul_f32_dpp v195, v12, v195 row_newbcast:15 row_mask:0xf bank_mask:0xf// 0000000072D4: 0B8786FA FF015F0C
	v_pk_mul_f32 v[192:193], v[44:45], v[192:193]              // 0000000072DC: D3B140C0 1803812C
	v_pk_mul_f32 v[194:195], v[44:45], v[194:195]              // 0000000072E4: D3B140C2 1803852C
	v_mov_b32_e32 v42, v25                                     // 0000000072EC: 7E540319
	v_mov_b32_e32 v44, v21                                     // 0000000072F0: 7E580315
	v_mov_b32_e32 v43, v42                                     // 0000000072F4: 7E56032A
	v_mov_b32_e32 v45, v44                                     // 0000000072F8: 7E5A032C
	v_cvt_f32_i32_e32 v172, v172                               // 0000000072FC: 7F580BAC
	v_cvt_f32_i32_e32 v173, v173                               // 000000007300: 7F5A0BAD
	v_cvt_f32_i32_e32 v174, v174                               // 000000007304: 7F5C0BAE
	v_cvt_f32_i32_e32 v175, v175                               // 000000007308: 7F5E0BAF
	v_pk_mul_f32 v[172:173], v[42:43], v[172:173]              // 00000000730C: D3B140AC 1803592A
	v_pk_mul_f32 v[174:175], v[42:43], v[174:175]              // 000000007314: D3B140AE 18035D2A
	v_mul_f32_dpp v172, v12, v172 row_newbcast:0 row_mask:0xf bank_mask:0xf// 00000000731C: 0B5958FA FF01500C
	v_mul_f32_dpp v173, v12, v173 row_newbcast:1 row_mask:0xf bank_mask:0xf// 000000007324: 0B5B5AFA FF01510C
	v_mul_f32_dpp v174, v12, v174 row_newbcast:2 row_mask:0xf bank_mask:0xf// 00000000732C: 0B5D5CFA FF01520C
	v_mul_f32_dpp v175, v12, v175 row_newbcast:3 row_mask:0xf bank_mask:0xf// 000000007334: 0B5F5EFA FF01530C
	v_pk_mul_f32 v[172:173], v[44:45], v[172:173]              // 00000000733C: D3B140AC 1803592C
	v_pk_mul_f32 v[174:175], v[44:45], v[174:175]              // 000000007344: D3B140AE 18035D2C
	v_cvt_f32_i32_e32 v180, v180                               // 00000000734C: 7F680BB4
	v_cvt_f32_i32_e32 v181, v181                               // 000000007350: 7F6A0BB5
	v_cvt_f32_i32_e32 v182, v182                               // 000000007354: 7F6C0BB6
	v_cvt_f32_i32_e32 v183, v183                               // 000000007358: 7F6E0BB7
	v_pk_mul_f32 v[180:181], v[42:43], v[180:181]              // 00000000735C: D3B140B4 1803692A
	v_pk_mul_f32 v[182:183], v[42:43], v[182:183]              // 000000007364: D3B140B6 18036D2A
	v_mul_f32_dpp v180, v12, v180 row_newbcast:4 row_mask:0xf bank_mask:0xf// 00000000736C: 0B6968FA FF01540C
	v_mul_f32_dpp v181, v12, v181 row_newbcast:5 row_mask:0xf bank_mask:0xf// 000000007374: 0B6B6AFA FF01550C
	v_mul_f32_dpp v182, v12, v182 row_newbcast:6 row_mask:0xf bank_mask:0xf// 00000000737C: 0B6D6CFA FF01560C
	v_mul_f32_dpp v183, v12, v183 row_newbcast:7 row_mask:0xf bank_mask:0xf// 000000007384: 0B6F6EFA FF01570C
	v_pk_mul_f32 v[180:181], v[44:45], v[180:181]              // 00000000738C: D3B140B4 1803692C
	v_pk_mul_f32 v[182:183], v[44:45], v[182:183]              // 000000007394: D3B140B6 18036D2C
	v_cvt_f32_i32_e32 v188, v188                               // 00000000739C: 7F780BBC
	v_cvt_f32_i32_e32 v189, v189                               // 0000000073A0: 7F7A0BBD
	v_cvt_f32_i32_e32 v190, v190                               // 0000000073A4: 7F7C0BBE
	v_cvt_f32_i32_e32 v191, v191                               // 0000000073A8: 7F7E0BBF
	v_pk_mul_f32 v[188:189], v[42:43], v[188:189]              // 0000000073AC: D3B140BC 1803792A
	v_pk_mul_f32 v[190:191], v[42:43], v[190:191]              // 0000000073B4: D3B140BE 18037D2A
	v_mul_f32_dpp v188, v12, v188 row_newbcast:8 row_mask:0xf bank_mask:0xf// 0000000073BC: 0B7978FA FF01580C
	v_mul_f32_dpp v189, v12, v189 row_newbcast:9 row_mask:0xf bank_mask:0xf// 0000000073C4: 0B7B7AFA FF01590C
	v_mul_f32_dpp v190, v12, v190 row_newbcast:10 row_mask:0xf bank_mask:0xf// 0000000073CC: 0B7D7CFA FF015A0C
	v_mul_f32_dpp v191, v12, v191 row_newbcast:11 row_mask:0xf bank_mask:0xf// 0000000073D4: 0B7F7EFA FF015B0C
	v_pk_mul_f32 v[188:189], v[44:45], v[188:189]              // 0000000073DC: D3B140BC 1803792C
	v_pk_mul_f32 v[190:191], v[44:45], v[190:191]              // 0000000073E4: D3B140BE 18037D2C
	v_cvt_f32_i32_e32 v196, v196                               // 0000000073EC: 7F880BC4
	v_cvt_f32_i32_e32 v197, v197                               // 0000000073F0: 7F8A0BC5
	v_cvt_f32_i32_e32 v198, v198                               // 0000000073F4: 7F8C0BC6
	v_cvt_f32_i32_e32 v199, v199                               // 0000000073F8: 7F8E0BC7
	v_pk_mul_f32 v[196:197], v[42:43], v[196:197]              // 0000000073FC: D3B140C4 1803892A
	v_pk_mul_f32 v[198:199], v[42:43], v[198:199]              // 000000007404: D3B140C6 18038D2A
	v_mul_f32_dpp v196, v12, v196 row_newbcast:12 row_mask:0xf bank_mask:0xf// 00000000740C: 0B8988FA FF015C0C
	v_mul_f32_dpp v197, v12, v197 row_newbcast:13 row_mask:0xf bank_mask:0xf// 000000007414: 0B8B8AFA FF015D0C
	v_mul_f32_dpp v198, v12, v198 row_newbcast:14 row_mask:0xf bank_mask:0xf// 00000000741C: 0B8D8CFA FF015E0C
	v_mul_f32_dpp v199, v12, v199 row_newbcast:15 row_mask:0xf bank_mask:0xf// 000000007424: 0B8F8EFA FF015F0C
	v_pk_mul_f32 v[196:197], v[44:45], v[196:197]              // 00000000742C: D3B140C4 1803892C
	v_pk_mul_f32 v[198:199], v[44:45], v[198:199]              // 000000007434: D3B140C6 18038D2C
	v_cmp_u_f32_e64 s[48:49], v168, v168                       // 00000000743C: D0480030 000351A8
	v_add3_u32 v50, v168, v53, 1                               // 000000007444: D1FF0032 02066BA8
	v_cndmask_b32_e64 v42, v50, v52, s[48:49]                  // 00000000744C: D100002A 00C26932
	v_cmp_u_f32_e64 s[48:49], v169, v169                       // 000000007454: D0480030 000353A9
	v_add3_u32 v50, v169, v53, 1                               // 00000000745C: D1FF0032 02066BA9
	v_cndmask_b32_e64 v43, v50, v52, s[48:49]                  // 000000007464: D100002B 00C26932
	v_perm_b32 v168, v43, v42, s52                             // 00000000746C: D1ED00A8 00D2552B
	v_cmp_u_f32_e64 s[48:49], v170, v170                       // 000000007474: D0480030 000355AA
	v_add3_u32 v50, v170, v53, 1                               // 00000000747C: D1FF0032 02066BAA
	v_cndmask_b32_e64 v42, v50, v52, s[48:49]                  // 000000007484: D100002A 00C26932
	v_cmp_u_f32_e64 s[48:49], v171, v171                       // 00000000748C: D0480030 000357AB
	v_add3_u32 v50, v171, v53, 1                               // 000000007494: D1FF0032 02066BAB
	v_cndmask_b32_e64 v43, v50, v52, s[48:49]                  // 00000000749C: D100002B 00C26932
	v_perm_b32 v169, v43, v42, s52                             // 0000000074A4: D1ED00A9 00D2552B
	v_cmp_u_f32_e64 s[48:49], v172, v172                       // 0000000074AC: D0480030 000359AC
	v_add3_u32 v50, v172, v53, 1                               // 0000000074B4: D1FF0032 02066BAC
	v_cndmask_b32_e64 v42, v50, v52, s[48:49]                  // 0000000074BC: D100002A 00C26932
	v_cmp_u_f32_e64 s[48:49], v173, v173                       // 0000000074C4: D0480030 00035BAD
	v_add3_u32 v50, v173, v53, 1                               // 0000000074CC: D1FF0032 02066BAD
	v_cndmask_b32_e64 v43, v50, v52, s[48:49]                  // 0000000074D4: D100002B 00C26932
	v_perm_b32 v170, v43, v42, s52                             // 0000000074DC: D1ED00AA 00D2552B
	v_cmp_u_f32_e64 s[48:49], v174, v174                       // 0000000074E4: D0480030 00035DAE
	v_add3_u32 v50, v174, v53, 1                               // 0000000074EC: D1FF0032 02066BAE
	v_cndmask_b32_e64 v42, v50, v52, s[48:49]                  // 0000000074F4: D100002A 00C26932
	v_cmp_u_f32_e64 s[48:49], v175, v175                       // 0000000074FC: D0480030 00035FAF
	v_add3_u32 v50, v175, v53, 1                               // 000000007504: D1FF0032 02066BAF
	v_cndmask_b32_e64 v43, v50, v52, s[48:49]                  // 00000000750C: D100002B 00C26932
	v_perm_b32 v171, v43, v42, s52                             // 000000007514: D1ED00AB 00D2552B
	v_cmp_u_f32_e64 s[48:49], v176, v176                       // 00000000751C: D0480030 000361B0
	v_add3_u32 v50, v176, v53, 1                               // 000000007524: D1FF0032 02066BB0
	v_cndmask_b32_e64 v42, v50, v52, s[48:49]                  // 00000000752C: D100002A 00C26932
	v_cmp_u_f32_e64 s[48:49], v177, v177                       // 000000007534: D0480030 000363B1
	v_add3_u32 v50, v177, v53, 1                               // 00000000753C: D1FF0032 02066BB1
	v_cndmask_b32_e64 v43, v50, v52, s[48:49]                  // 000000007544: D100002B 00C26932
	v_perm_b32 v172, v43, v42, s52                             // 00000000754C: D1ED00AC 00D2552B
	v_cmp_u_f32_e64 s[48:49], v178, v178                       // 000000007554: D0480030 000365B2
	v_add3_u32 v50, v178, v53, 1                               // 00000000755C: D1FF0032 02066BB2
	v_cndmask_b32_e64 v42, v50, v52, s[48:49]                  // 000000007564: D100002A 00C26932
	v_cmp_u_f32_e64 s[48:49], v179, v179                       // 00000000756C: D0480030 000367B3
	v_add3_u32 v50, v179, v53, 1                               // 000000007574: D1FF0032 02066BB3
	v_cndmask_b32_e64 v43, v50, v52, s[48:49]                  // 00000000757C: D100002B 00C26932
	v_perm_b32 v173, v43, v42, s52                             // 000000007584: D1ED00AD 00D2552B
	v_cmp_u_f32_e64 s[48:49], v180, v180                       // 00000000758C: D0480030 000369B4
	v_add3_u32 v50, v180, v53, 1                               // 000000007594: D1FF0032 02066BB4
	v_cndmask_b32_e64 v42, v50, v52, s[48:49]                  // 00000000759C: D100002A 00C26932
	v_cmp_u_f32_e64 s[48:49], v181, v181                       // 0000000075A4: D0480030 00036BB5
	v_add3_u32 v50, v181, v53, 1                               // 0000000075AC: D1FF0032 02066BB5
	v_cndmask_b32_e64 v43, v50, v52, s[48:49]                  // 0000000075B4: D100002B 00C26932
	v_perm_b32 v174, v43, v42, s52                             // 0000000075BC: D1ED00AE 00D2552B
	v_cmp_u_f32_e64 s[48:49], v182, v182                       // 0000000075C4: D0480030 00036DB6
	v_add3_u32 v50, v182, v53, 1                               // 0000000075CC: D1FF0032 02066BB6
	v_cndmask_b32_e64 v42, v50, v52, s[48:49]                  // 0000000075D4: D100002A 00C26932
	v_cmp_u_f32_e64 s[48:49], v183, v183                       // 0000000075DC: D0480030 00036FB7
	v_add3_u32 v50, v183, v53, 1                               // 0000000075E4: D1FF0032 02066BB7
	v_cndmask_b32_e64 v43, v50, v52, s[48:49]                  // 0000000075EC: D100002B 00C26932
	v_perm_b32 v175, v43, v42, s52                             // 0000000075F4: D1ED00AF 00D2552B
	v_cmp_u_f32_e64 s[48:49], v184, v184                       // 0000000075FC: D0480030 000371B8
	v_add3_u32 v50, v184, v53, 1                               // 000000007604: D1FF0032 02066BB8
	v_cndmask_b32_e64 v42, v50, v52, s[48:49]                  // 00000000760C: D100002A 00C26932
	v_cmp_u_f32_e64 s[48:49], v185, v185                       // 000000007614: D0480030 000373B9
	v_add3_u32 v50, v185, v53, 1                               // 00000000761C: D1FF0032 02066BB9
	v_cndmask_b32_e64 v43, v50, v52, s[48:49]                  // 000000007624: D100002B 00C26932
	v_perm_b32 v176, v43, v42, s52                             // 00000000762C: D1ED00B0 00D2552B
	v_cmp_u_f32_e64 s[48:49], v186, v186                       // 000000007634: D0480030 000375BA
	v_add3_u32 v50, v186, v53, 1                               // 00000000763C: D1FF0032 02066BBA
	v_cndmask_b32_e64 v42, v50, v52, s[48:49]                  // 000000007644: D100002A 00C26932
	v_cmp_u_f32_e64 s[48:49], v187, v187                       // 00000000764C: D0480030 000377BB
	v_add3_u32 v50, v187, v53, 1                               // 000000007654: D1FF0032 02066BBB
	v_cndmask_b32_e64 v43, v50, v52, s[48:49]                  // 00000000765C: D100002B 00C26932
	v_perm_b32 v177, v43, v42, s52                             // 000000007664: D1ED00B1 00D2552B
	v_cmp_u_f32_e64 s[48:49], v188, v188                       // 00000000766C: D0480030 000379BC
	v_add3_u32 v50, v188, v53, 1                               // 000000007674: D1FF0032 02066BBC
	v_cndmask_b32_e64 v42, v50, v52, s[48:49]                  // 00000000767C: D100002A 00C26932
	v_cmp_u_f32_e64 s[48:49], v189, v189                       // 000000007684: D0480030 00037BBD
	v_add3_u32 v50, v189, v53, 1                               // 00000000768C: D1FF0032 02066BBD
	v_cndmask_b32_e64 v43, v50, v52, s[48:49]                  // 000000007694: D100002B 00C26932
	v_perm_b32 v178, v43, v42, s52                             // 00000000769C: D1ED00B2 00D2552B
	v_cmp_u_f32_e64 s[48:49], v190, v190                       // 0000000076A4: D0480030 00037DBE
	v_add3_u32 v50, v190, v53, 1                               // 0000000076AC: D1FF0032 02066BBE
	v_cndmask_b32_e64 v42, v50, v52, s[48:49]                  // 0000000076B4: D100002A 00C26932
	v_cmp_u_f32_e64 s[48:49], v191, v191                       // 0000000076BC: D0480030 00037FBF
	v_add3_u32 v50, v191, v53, 1                               // 0000000076C4: D1FF0032 02066BBF
	v_cndmask_b32_e64 v43, v50, v52, s[48:49]                  // 0000000076CC: D100002B 00C26932
	v_perm_b32 v179, v43, v42, s52                             // 0000000076D4: D1ED00B3 00D2552B
	v_cmp_u_f32_e64 s[48:49], v192, v192                       // 0000000076DC: D0480030 000381C0
	v_add3_u32 v50, v192, v53, 1                               // 0000000076E4: D1FF0032 02066BC0
	v_cndmask_b32_e64 v42, v50, v52, s[48:49]                  // 0000000076EC: D100002A 00C26932
	v_cmp_u_f32_e64 s[48:49], v193, v193                       // 0000000076F4: D0480030 000383C1
	v_add3_u32 v50, v193, v53, 1                               // 0000000076FC: D1FF0032 02066BC1
	v_cndmask_b32_e64 v43, v50, v52, s[48:49]                  // 000000007704: D100002B 00C26932
	v_perm_b32 v180, v43, v42, s52                             // 00000000770C: D1ED00B4 00D2552B
	v_cmp_u_f32_e64 s[48:49], v194, v194                       // 000000007714: D0480030 000385C2
	v_add3_u32 v50, v194, v53, 1                               // 00000000771C: D1FF0032 02066BC2
	v_cndmask_b32_e64 v42, v50, v52, s[48:49]                  // 000000007724: D100002A 00C26932
	v_cmp_u_f32_e64 s[48:49], v195, v195                       // 00000000772C: D0480030 000387C3
	v_add3_u32 v50, v195, v53, 1                               // 000000007734: D1FF0032 02066BC3
	v_cndmask_b32_e64 v43, v50, v52, s[48:49]                  // 00000000773C: D100002B 00C26932
	v_perm_b32 v181, v43, v42, s52                             // 000000007744: D1ED00B5 00D2552B
	v_cmp_u_f32_e64 s[48:49], v196, v196                       // 00000000774C: D0480030 000389C4
	v_add3_u32 v50, v196, v53, 1                               // 000000007754: D1FF0032 02066BC4
	v_cndmask_b32_e64 v42, v50, v52, s[48:49]                  // 00000000775C: D100002A 00C26932
	v_cmp_u_f32_e64 s[48:49], v197, v197                       // 000000007764: D0480030 00038BC5
	v_add3_u32 v50, v197, v53, 1                               // 00000000776C: D1FF0032 02066BC5
	v_cndmask_b32_e64 v43, v50, v52, s[48:49]                  // 000000007774: D100002B 00C26932
	v_perm_b32 v182, v43, v42, s52                             // 00000000777C: D1ED00B6 00D2552B
	v_cmp_u_f32_e64 s[48:49], v198, v198                       // 000000007784: D0480030 00038DC6
	v_add3_u32 v50, v198, v53, 1                               // 00000000778C: D1FF0032 02066BC6
	v_cndmask_b32_e64 v42, v50, v52, s[48:49]                  // 000000007794: D100002A 00C26932
	v_cmp_u_f32_e64 s[48:49], v199, v199                       // 00000000779C: D0480030 00038FC7
	v_add3_u32 v50, v199, v53, 1                               // 0000000077A4: D1FF0032 02066BC7
	v_cndmask_b32_e64 v43, v50, v52, s[48:49]                  // 0000000077AC: D100002B 00C26932
	v_perm_b32 v183, v43, v42, s52                             // 0000000077B4: D1ED00B7 00D2552B
	s_cmp_ge_u32 s80, 0x200                                    // 0000000077BC: BF09FF50 00000200
	s_cselect_b32 s59, 0x200, s59                              // 0000000077C4: 853B3BFF 00000200
	s_setvskip s20, 0                                          // 0000000077CC: BF108014
	global_atomic_pk_add_bf16 v80, v64, s[8:9]                 // 0000000077D0: DD488000 00084050
	s_setvskip 0, 0                                            // 0000000077D8: BF108080
	s_setvskip s20, 0                                          // 0000000077DC: BF108014
	global_atomic_pk_add_bf16 v80, v65, s[8:9] offset:256      // 0000000077E0: DD488100 00084150
	s_setvskip 0, 0                                            // 0000000077E8: BF108080
	s_setvskip s20, 1                                          // 0000000077EC: BF108114
	global_atomic_pk_add_bf16 v82, v66, s[8:9]                 // 0000000077F0: DD488000 00084252
	s_setvskip 0, 0                                            // 0000000077F8: BF108080
	s_setvskip s20, 1                                          // 0000000077FC: BF108114
	global_atomic_pk_add_bf16 v82, v67, s[8:9] offset:256      // 000000007800: DD488100 00084352
	s_setvskip 0, 0                                            // 000000007808: BF108080
	s_setvskip s20, 2                                          // 00000000780C: BF108214
	global_atomic_pk_add_bf16 v84, v68, s[8:9]                 // 000000007810: DD488000 00084454
	s_setvskip 0, 0                                            // 000000007818: BF108080
	s_setvskip s20, 2                                          // 00000000781C: BF108214
	global_atomic_pk_add_bf16 v84, v69, s[8:9] offset:256      // 000000007820: DD488100 00084554
	s_setvskip 0, 0                                            // 000000007828: BF108080
	s_setvskip s20, 3                                          // 00000000782C: BF108314
	global_atomic_pk_add_bf16 v86, v70, s[8:9]                 // 000000007830: DD488000 00084656
	s_setvskip 0, 0                                            // 000000007838: BF108080
	s_setvskip s20, 3                                          // 00000000783C: BF108314
	global_atomic_pk_add_bf16 v86, v71, s[8:9] offset:256      // 000000007840: DD488100 00084756
	s_setvskip 0, 0                                            // 000000007848: BF108080
	s_setvskip s20, 4                                          // 00000000784C: BF108414
	global_atomic_pk_add_bf16 v88, v72, s[8:9]                 // 000000007850: DD488000 00084858
	s_setvskip 0, 0                                            // 000000007858: BF108080
	s_setvskip s20, 4                                          // 00000000785C: BF108414
	global_atomic_pk_add_bf16 v88, v73, s[8:9] offset:256      // 000000007860: DD488100 00084958
	s_setvskip 0, 0                                            // 000000007868: BF108080
	s_setvskip s20, 5                                          // 00000000786C: BF108514
	global_atomic_pk_add_bf16 v90, v74, s[8:9]                 // 000000007870: DD488000 00084A5A
	s_setvskip 0, 0                                            // 000000007878: BF108080
	s_setvskip s20, 5                                          // 00000000787C: BF108514
	global_atomic_pk_add_bf16 v90, v75, s[8:9] offset:256      // 000000007880: DD488100 00084B5A
	s_setvskip 0, 0                                            // 000000007888: BF108080
	s_setvskip s20, 6                                          // 00000000788C: BF108614
	global_atomic_pk_add_bf16 v92, v76, s[8:9]                 // 000000007890: DD488000 00084C5C
	s_setvskip 0, 0                                            // 000000007898: BF108080
	s_setvskip s20, 6                                          // 00000000789C: BF108614
	global_atomic_pk_add_bf16 v92, v77, s[8:9] offset:256      // 0000000078A0: DD488100 00084D5C
	s_setvskip 0, 0                                            // 0000000078A8: BF108080
	s_setvskip s20, 7                                          // 0000000078AC: BF108714
	global_atomic_pk_add_bf16 v94, v78, s[8:9]                 // 0000000078B0: DD488000 00084E5E
	s_setvskip 0, 0                                            // 0000000078B8: BF108080
	s_setvskip s20, 7                                          // 0000000078BC: BF108714
	global_atomic_pk_add_bf16 v94, v79, s[8:9] offset:256      // 0000000078C0: DD488100 00084F5E
	s_setvskip 0, 0                                            // 0000000078C8: BF108080
	s_add_u32 s8, s59, s8                                      // 0000000078CC: 8008083B
	s_addc_u32 s9, 0, s9                                       // 0000000078D0: 82090980
	s_addk_i32 s80, 0x100                                      // 0000000078D4: B7500100
	s_cmp_lt_i32 s80, s81                                      // 0000000078D8: BF045150
	s_cbranch_scc0 label_165C                                  // 0000000078DC: BF8402E4
	s_waitcnt vmcnt(17) lgkmcnt(0)                             // 0000000078E0: BF8C4071
	s_barrier                                                  // 0000000078E4: BF8A0000
	v_mfma_i32_16x16x32_i8 v[200:203], a[80:81], v[128:129], 0 // 0000000078E8: D3D700C8 0A030150
	ds_read_b32 v64, v4 offset:19456                           // 0000000078F0: D86C4C00 40000004
	ds_read_b32 v65, v4 offset:23808                           // 0000000078F8: D86C5D00 41000004
	v_mfma_i32_16x16x32_i8 v[200:203], a[82:83], v[130:131], v[200:203]// 000000007900: D3D700C8 0F230552
	buffer_load_dwordx4 a[0:3], v46, s[12:15], 0 offen         // 000000007908: E05C1000 8083002E
	v_mfma_i32_16x16x32_i8 v[204:207], a[80:81], v[148:149], 0 // 000000007910: D3D700CC 0A032950
	ds_read_b32 v66, v4 offset:19488                           // 000000007918: D86C4C20 42000004
	ds_read_b32 v67, v4 offset:23840                           // 000000007920: D86C5D20 43000004
	v_mfma_i32_16x16x32_i8 v[204:207], a[82:83], v[150:151], v[204:207]// 000000007928: D3D700CC 0F332D52
	v_mfma_i32_16x16x32_i8 v[208:211], a[84:85], v[128:129], 0 // 000000007930: D3D700D0 0A030154
	ds_read_b32 v68, v4 offset:19520                           // 000000007938: D86C4C40 44000004
	ds_read_b32 v69, v4 offset:23872                           // 000000007940: D86C5D40 45000004
	v_mfma_i32_16x16x32_i8 v[208:211], a[86:87], v[130:131], v[208:211]// 000000007948: D3D700D0 0F430556
	buffer_load_dwordx4 a[4:7], v47, s[12:15], 0 offen         // 000000007950: E05C1000 8083042F
	v_mfma_i32_16x16x32_i8 v[212:215], a[84:85], v[148:149], 0 // 000000007958: D3D700D4 0A032954
	ds_read_b32 v70, v4 offset:19552                           // 000000007960: D86C4C60 46000004
	ds_read_b32 v71, v4 offset:23904                           // 000000007968: D86C5D60 47000004
	v_mfma_i32_16x16x32_i8 v[212:215], a[86:87], v[150:151], v[212:215]// 000000007970: D3D700D4 0F532D56
	v_mfma_i32_16x16x32_i8 v[216:219], a[88:89], v[128:129], 0 // 000000007978: D3D700D8 0A030158
	ds_read_b32 v72, v4 offset:28160                           // 000000007980: D86C6E00 48000004
	ds_read_b32 v73, v4 offset:32512                           // 000000007988: D86C7F00 49000004
	v_mfma_i32_16x16x32_i8 v[216:219], a[90:91], v[130:131], v[216:219]// 000000007990: D3D700D8 0F63055A
	buffer_load_dwordx4 a[8:11], v48, s[12:15], 0 offen        // 000000007998: E05C1000 80830830
	v_mfma_i32_16x16x32_i8 v[220:223], a[88:89], v[148:149], 0 // 0000000079A0: D3D700DC 0A032958
	ds_read_b32 v74, v4 offset:28192                           // 0000000079A8: D86C6E20 4A000004
	ds_read_b32 v75, v4 offset:32544                           // 0000000079B0: D86C7F20 4B000004
	v_mfma_i32_16x16x32_i8 v[220:223], a[90:91], v[150:151], v[220:223]// 0000000079B8: D3D700DC 0F732D5A
	v_mfma_i32_16x16x32_i8 v[224:227], a[92:93], v[128:129], 0 // 0000000079C0: D3D700E0 0A03015C
	ds_read_b32 v76, v4 offset:28224                           // 0000000079C8: D86C6E40 4C000004
	ds_read_b32 v77, v4 offset:32576                           // 0000000079D0: D86C7F40 4D000004
	v_mfma_i32_16x16x32_i8 v[224:227], a[94:95], v[130:131], v[224:227]// 0000000079D8: D3D700E0 0F83055E
	buffer_load_dwordx4 a[12:15], v49, s[12:15], 0 offen       // 0000000079E0: E05C1000 80830C31
	s_add_u32 s12, s78, s12                                    // 0000000079E8: 800C0C4E
	s_addc_u32 s13, 0, s13                                     // 0000000079EC: 820D0D80
	v_mfma_i32_16x16x32_i8 v[228:231], a[92:93], v[148:149], 0 // 0000000079F0: D3D700E4 0A03295C
	ds_read_b32 v78, v4 offset:28256                           // 0000000079F8: D86C6E60 4E000004
	ds_read_b32 v79, v4 offset:32608                           // 000000007A00: D86C7F60 4F000004
	v_mfma_i32_16x16x32_i8 v[228:231], a[94:95], v[150:151], v[228:231]// 000000007A08: D3D700E4 0F932D5E
	s_waitcnt vmcnt(17)                                        // 000000007A10: BF8C4F71
	v_mfma_i32_16x16x32_i8 v[200:203], a[96:97], v[132:133], v[200:203]// 000000007A14: D3D700C8 0F230960
	v_mfma_i32_16x16x32_i8 v[200:203], a[98:99], v[134:135], v[200:203]// 000000007A1C: D3D700C8 0F230D62
	buffer_load_dwordx4 a[16:19], v46, s[12:15], 0 offen       // 000000007A24: E05C1000 8083102E
	v_mfma_i32_16x16x32_i8 v[204:207], a[96:97], v[152:153], v[204:207]// 000000007A2C: D3D700CC 0F333160
	v_mfma_i32_16x16x32_i8 v[204:207], a[98:99], v[154:155], v[204:207]// 000000007A34: D3D700CC 0F333562
	v_mfma_i32_16x16x32_i8 v[208:211], a[100:101], v[132:133], v[208:211]// 000000007A3C: D3D700D0 0F430964
	v_mfma_i32_16x16x32_i8 v[208:211], a[102:103], v[134:135], v[208:211]// 000000007A44: D3D700D0 0F430D66
	buffer_load_dwordx4 a[20:23], v47, s[12:15], 0 offen       // 000000007A4C: E05C1000 8083142F
	v_mfma_i32_16x16x32_i8 v[212:215], a[100:101], v[152:153], v[212:215]// 000000007A54: D3D700D4 0F533164
	v_mfma_i32_16x16x32_i8 v[212:215], a[102:103], v[154:155], v[212:215]// 000000007A5C: D3D700D4 0F533566
	v_mfma_i32_16x16x32_i8 v[216:219], a[104:105], v[132:133], v[216:219]// 000000007A64: D3D700D8 0F630968
	v_mfma_i32_16x16x32_i8 v[216:219], a[106:107], v[134:135], v[216:219]// 000000007A6C: D3D700D8 0F630D6A
	buffer_load_dwordx4 a[24:27], v48, s[12:15], 0 offen       // 000000007A74: E05C1000 80831830
	v_mfma_i32_16x16x32_i8 v[220:223], a[104:105], v[152:153], v[220:223]// 000000007A7C: D3D700DC 0F733168
	v_mfma_i32_16x16x32_i8 v[220:223], a[106:107], v[154:155], v[220:223]// 000000007A84: D3D700DC 0F73356A
	v_mfma_i32_16x16x32_i8 v[224:227], a[108:109], v[132:133], v[224:227]// 000000007A8C: D3D700E0 0F83096C
	v_mfma_i32_16x16x32_i8 v[224:227], a[110:111], v[134:135], v[224:227]// 000000007A94: D3D700E0 0F830D6E
	buffer_load_dwordx4 a[28:31], v49, s[12:15], 0 offen       // 000000007A9C: E05C1000 80831C31
	s_add_u32 s12, s78, s12                                    // 000000007AA4: 800C0C4E
	s_addc_u32 s13, 0, s13                                     // 000000007AA8: 820D0D80
	v_mfma_i32_16x16x32_i8 v[228:231], a[108:109], v[152:153], v[228:231]// 000000007AAC: D3D700E4 0F93316C
	v_mfma_i32_16x16x32_i8 v[228:231], a[110:111], v[154:155], v[228:231]// 000000007AB4: D3D700E4 0F93356E
	s_waitcnt vmcnt(17)                                        // 000000007ABC: BF8C4F71
	v_mfma_i32_16x16x32_i8 v[200:203], a[112:113], v[136:137], v[200:203]// 000000007AC0: D3D700C8 0F231170
	ds_write_b64 v3, v[168:169] offset:2048                    // 000000007AC8: D89A0800 0000A803
	v_mfma_i32_16x16x32_i8 v[200:203], a[114:115], v[138:139], v[200:203]// 000000007AD0: D3D700C8 0F231572
	buffer_load_dwordx4 a[32:35], v46, s[12:15], 0 offen       // 000000007AD8: E05C1000 8083202E
	v_mfma_i32_16x16x32_i8 v[204:207], a[112:113], v[156:157], v[204:207]// 000000007AE0: D3D700CC 0F333970
	ds_write_b64 v3, v[170:171] offset:10752                   // 000000007AE8: D89A2A00 0000AA03
	v_mfma_i32_16x16x32_i8 v[204:207], a[114:115], v[158:159], v[204:207]// 000000007AF0: D3D700CC 0F333D72
	v_mfma_i32_16x16x32_i8 v[208:211], a[116:117], v[136:137], v[208:211]// 000000007AF8: D3D700D0 0F431174
	ds_write_b64 v3, v[172:173] offset:4224                    // 000000007B00: D89A1080 0000AC03
	v_mfma_i32_16x16x32_i8 v[208:211], a[118:119], v[138:139], v[208:211]// 000000007B08: D3D700D0 0F431576
	buffer_load_dwordx4 a[36:39], v47, s[12:15], 0 offen       // 000000007B10: E05C1000 8083242F
	v_mfma_i32_16x16x32_i8 v[212:215], a[116:117], v[156:157], v[212:215]// 000000007B18: D3D700D4 0F533974
	ds_write_b64 v3, v[174:175] offset:12928                   // 000000007B20: D89A3280 0000AE03
	v_mfma_i32_16x16x32_i8 v[212:215], a[118:119], v[158:159], v[212:215]// 000000007B28: D3D700D4 0F533D76
	v_mfma_i32_16x16x32_i8 v[216:219], a[120:121], v[136:137], v[216:219]// 000000007B30: D3D700D8 0F631178
	ds_write_b64 v3, v[176:177] offset:6400                    // 000000007B38: D89A1900 0000B003
	v_mfma_i32_16x16x32_i8 v[216:219], a[122:123], v[138:139], v[216:219]// 000000007B40: D3D700D8 0F63157A
	buffer_load_dwordx4 a[40:43], v48, s[12:15], 0 offen       // 000000007B48: E05C1000 80832830
	v_mfma_i32_16x16x32_i8 v[220:223], a[120:121], v[156:157], v[220:223]// 000000007B50: D3D700DC 0F733978
	ds_write_b64 v3, v[178:179] offset:15104                   // 000000007B58: D89A3B00 0000B203
	v_mfma_i32_16x16x32_i8 v[220:223], a[122:123], v[158:159], v[220:223]// 000000007B60: D3D700DC 0F733D7A
	v_mfma_i32_16x16x32_i8 v[224:227], a[124:125], v[136:137], v[224:227]// 000000007B68: D3D700E0 0F83117C
	ds_write_b64 v3, v[180:181] offset:8576                    // 000000007B70: D89A2180 0000B403
	v_mfma_i32_16x16x32_i8 v[224:227], a[126:127], v[138:139], v[224:227]// 000000007B78: D3D700E0 0F83157E
	buffer_load_dwordx4 a[44:47], v49, s[12:15], 0 offen       // 000000007B80: E05C1000 80832C31
	s_add_u32 s12, s78, s12                                    // 000000007B88: 800C0C4E
	s_addc_u32 s13, 0, s13                                     // 000000007B8C: 820D0D80
	v_mfma_i32_16x16x32_i8 v[228:231], a[124:125], v[156:157], v[228:231]// 000000007B90: D3D700E4 0F93397C
	ds_write_b64 v3, v[182:183] offset:17280                   // 000000007B98: D89A4380 0000B603
	v_mfma_i32_16x16x32_i8 v[228:231], a[126:127], v[158:159], v[228:231]// 000000007BA0: D3D700E4 0F933D7E
	s_waitcnt vmcnt(17)                                        // 000000007BA8: BF8C4F71
	v_mfma_i32_16x16x32_i8 v[200:203], a[128:129], v[140:141], v[200:203]// 000000007BAC: D3D700C8 0F231980
	v_mfma_i32_16x16x32_i8 v[200:203], a[130:131], v[142:143], v[200:203]// 000000007BB4: D3D700C8 0F231D82
	buffer_load_dwordx4 a[48:51], v46, s[12:15], 0 offen       // 000000007BBC: E05C1000 8083302E
	v_mfma_i32_16x16x32_i8 v[204:207], a[128:129], v[160:161], v[204:207]// 000000007BC4: D3D700CC 0F334180
	v_mfma_i32_16x16x32_i8 v[204:207], a[130:131], v[162:163], v[204:207]// 000000007BCC: D3D700CC 0F334582
	v_mfma_i32_16x16x32_i8 v[208:211], a[132:133], v[140:141], v[208:211]// 000000007BD4: D3D700D0 0F431984
	v_mfma_i32_16x16x32_i8 v[208:211], a[134:135], v[142:143], v[208:211]// 000000007BDC: D3D700D0 0F431D86
	buffer_load_dwordx4 a[52:55], v47, s[12:15], 0 offen       // 000000007BE4: E05C1000 8083342F
	v_mfma_i32_16x16x32_i8 v[212:215], a[132:133], v[160:161], v[212:215]// 000000007BEC: D3D700D4 0F534184
	v_mfma_i32_16x16x32_i8 v[212:215], a[134:135], v[162:163], v[212:215]// 000000007BF4: D3D700D4 0F534586
	v_mfma_i32_16x16x32_i8 v[216:219], a[136:137], v[140:141], v[216:219]// 000000007BFC: D3D700D8 0F631988
	v_mfma_i32_16x16x32_i8 v[216:219], a[138:139], v[142:143], v[216:219]// 000000007C04: D3D700D8 0F631D8A
	buffer_load_dwordx4 a[56:59], v48, s[12:15], 0 offen       // 000000007C0C: E05C1000 80833830
	v_mfma_i32_16x16x32_i8 v[220:223], a[136:137], v[160:161], v[220:223]// 000000007C14: D3D700DC 0F734188
	v_mfma_i32_16x16x32_i8 v[220:223], a[138:139], v[162:163], v[220:223]// 000000007C1C: D3D700DC 0F73458A
	v_mfma_i32_16x16x32_i8 v[224:227], a[140:141], v[140:141], v[224:227]// 000000007C24: D3D700E0 0F83198C
	v_mfma_i32_16x16x32_i8 v[224:227], a[142:143], v[142:143], v[224:227]// 000000007C2C: D3D700E0 0F831D8E
	buffer_load_dwordx4 a[60:63], v49, s[12:15], 0 offen       // 000000007C34: E05C1000 80833C31
	s_add_u32 s12, s78, s12                                    // 000000007C3C: 800C0C4E
	s_addc_u32 s13, 0, s13                                     // 000000007C40: 820D0D80
	v_mfma_i32_16x16x32_i8 v[228:231], a[140:141], v[160:161], v[228:231]// 000000007C44: D3D700E4 0F93418C
	v_mfma_i32_16x16x32_i8 v[228:231], a[142:143], v[162:163], v[228:231]// 000000007C4C: D3D700E4 0F93458E
	s_waitcnt vmcnt(16)                                        // 000000007C54: BF8C4F70
	v_mfma_i32_16x16x32_i8 v[200:203], a[144:145], v[144:145], v[200:203]// 000000007C58: D3D700C8 0F232190
	v_mfma_i32_16x16x32_i8 v[200:203], a[146:147], v[146:147], v[200:203]// 000000007C60: D3D700C8 0F232592
	buffer_load_dwordx4 a[64:67], v46, s[12:15], 0 offen       // 000000007C68: E05C1000 8083402E
	v_mfma_i32_16x16x32_i8 v[204:207], a[144:145], v[164:165], v[204:207]// 000000007C70: D3D700CC 0F334990
	v_mfma_i32_16x16x32_i8 v[204:207], a[146:147], v[166:167], v[204:207]// 000000007C78: D3D700CC 0F334D92
	buffer_load_dword v12, v5, s[16:19], 0 offen               // 000000007C80: E0501000 80040C05
	v_mfma_i32_16x16x32_i8 v[208:211], a[148:149], v[144:145], v[208:211]// 000000007C88: D3D700D0 0F432194
	v_mfma_i32_16x16x32_i8 v[208:211], a[150:151], v[146:147], v[208:211]// 000000007C90: D3D700D0 0F432596
	buffer_load_dwordx4 a[68:71], v47, s[12:15], 0 offen       // 000000007C98: E05C1000 8083442F
	v_mfma_i32_16x16x32_i8 v[212:215], a[148:149], v[164:165], v[212:215]// 000000007CA0: D3D700D4 0F534994
	v_mfma_i32_16x16x32_i8 v[212:215], a[150:151], v[166:167], v[212:215]// 000000007CA8: D3D700D4 0F534D96
	v_mfma_i32_16x16x32_i8 v[216:219], a[152:153], v[144:145], v[216:219]// 000000007CB0: D3D700D8 0F632198
	v_mfma_i32_16x16x32_i8 v[216:219], a[154:155], v[146:147], v[216:219]// 000000007CB8: D3D700D8 0F63259A
	buffer_load_dwordx4 a[72:75], v48, s[12:15], 0 offen       // 000000007CC0: E05C1000 80834830
	v_mfma_i32_16x16x32_i8 v[220:223], a[152:153], v[164:165], v[220:223]// 000000007CC8: D3D700DC 0F734998
	v_mfma_i32_16x16x32_i8 v[220:223], a[154:155], v[166:167], v[220:223]// 000000007CD0: D3D700DC 0F734D9A
	v_mfma_i32_16x16x32_i8 v[224:227], a[156:157], v[144:145], v[224:227]// 000000007CD8: D3D700E0 0F83219C
	v_mfma_i32_16x16x32_i8 v[224:227], a[158:159], v[146:147], v[224:227]// 000000007CE0: D3D700E0 0F83259E
	buffer_load_dwordx4 a[76:79], v49, s[12:15], 0 offen       // 000000007CE8: E05C1000 80834C31
	v_mfma_i32_16x16x32_i8 v[228:231], a[156:157], v[164:165], v[228:231]// 000000007CF0: D3D700E4 0F93499C
	v_mfma_i32_16x16x32_i8 v[228:231], a[158:159], v[166:167], v[228:231]// 000000007CF8: D3D700E4 0F934D9E
	s_add_u32 s60, 0x200, s80                                  // 000000007D00: 803C50FF 00000200
	s_cmp_lt_u32 s60, s81                                      // 000000007D08: BF0A513C
	s_cselect_b32 s56, s56, 0                                  // 000000007D0C: 85388038
	s_cselect_b32 s78, s78, 0                                  // 000000007D10: 854E804E
	s_cselect_b32 s79, s79, 0                                  // 000000007D14: 854F804F
	s_add_u32 s12, s56, s12                                    // 000000007D18: 800C0C38
	s_addc_u32 s13, 0, s13                                     // 000000007D1C: 820D0D80
	s_add_u32 s16, s79, s16                                    // 000000007D20: 8010104F
	s_addc_u32 s17, 0, s17                                     // 000000007D24: 82111180
	v_mov_b32_e32 v42, v24                                     // 000000007D28: 7E540318
	v_mov_b32_e32 v44, v20                                     // 000000007D2C: 7E580314
	v_mov_b32_e32 v43, v42                                     // 000000007D30: 7E56032A
	v_mov_b32_e32 v45, v44                                     // 000000007D34: 7E5A032C
	v_cvt_f32_i32_e32 v200, v200                               // 000000007D38: 7F900BC8
	v_cvt_f32_i32_e32 v201, v201                               // 000000007D3C: 7F920BC9
	v_cvt_f32_i32_e32 v202, v202                               // 000000007D40: 7F940BCA
	v_cvt_f32_i32_e32 v203, v203                               // 000000007D44: 7F960BCB
	v_pk_mul_f32 v[200:201], v[42:43], v[200:201]              // 000000007D48: D3B140C8 1803912A
	v_pk_mul_f32 v[202:203], v[42:43], v[202:203]              // 000000007D50: D3B140CA 1803952A
	v_mul_f32_dpp v200, v13, v200 row_newbcast:0 row_mask:0xf bank_mask:0xf// 000000007D58: 0B9190FA FF01500D
	v_mul_f32_dpp v201, v13, v201 row_newbcast:1 row_mask:0xf bank_mask:0xf// 000000007D60: 0B9392FA FF01510D
	v_mul_f32_dpp v202, v13, v202 row_newbcast:2 row_mask:0xf bank_mask:0xf// 000000007D68: 0B9594FA FF01520D
	v_mul_f32_dpp v203, v13, v203 row_newbcast:3 row_mask:0xf bank_mask:0xf// 000000007D70: 0B9796FA FF01530D
	v_pk_mul_f32 v[200:201], v[44:45], v[200:201]              // 000000007D78: D3B140C8 1803912C
	v_pk_mul_f32 v[202:203], v[44:45], v[202:203]              // 000000007D80: D3B140CA 1803952C
	v_cvt_f32_i32_e32 v208, v208                               // 000000007D88: 7FA00BD0
	v_cvt_f32_i32_e32 v209, v209                               // 000000007D8C: 7FA20BD1
	v_cvt_f32_i32_e32 v210, v210                               // 000000007D90: 7FA40BD2
	v_cvt_f32_i32_e32 v211, v211                               // 000000007D94: 7FA60BD3
	v_pk_mul_f32 v[208:209], v[42:43], v[208:209]              // 000000007D98: D3B140D0 1803A12A
	v_pk_mul_f32 v[210:211], v[42:43], v[210:211]              // 000000007DA0: D3B140D2 1803A52A
	v_mul_f32_dpp v208, v13, v208 row_newbcast:4 row_mask:0xf bank_mask:0xf// 000000007DA8: 0BA1A0FA FF01540D
	v_mul_f32_dpp v209, v13, v209 row_newbcast:5 row_mask:0xf bank_mask:0xf// 000000007DB0: 0BA3A2FA FF01550D
	v_mul_f32_dpp v210, v13, v210 row_newbcast:6 row_mask:0xf bank_mask:0xf// 000000007DB8: 0BA5A4FA FF01560D
	v_mul_f32_dpp v211, v13, v211 row_newbcast:7 row_mask:0xf bank_mask:0xf// 000000007DC0: 0BA7A6FA FF01570D
	v_pk_mul_f32 v[208:209], v[44:45], v[208:209]              // 000000007DC8: D3B140D0 1803A12C
	v_pk_mul_f32 v[210:211], v[44:45], v[210:211]              // 000000007DD0: D3B140D2 1803A52C
	v_cvt_f32_i32_e32 v216, v216                               // 000000007DD8: 7FB00BD8
	v_cvt_f32_i32_e32 v217, v217                               // 000000007DDC: 7FB20BD9
	v_cvt_f32_i32_e32 v218, v218                               // 000000007DE0: 7FB40BDA
	v_cvt_f32_i32_e32 v219, v219                               // 000000007DE4: 7FB60BDB
	v_pk_mul_f32 v[216:217], v[42:43], v[216:217]              // 000000007DE8: D3B140D8 1803B12A
	v_pk_mul_f32 v[218:219], v[42:43], v[218:219]              // 000000007DF0: D3B140DA 1803B52A
	v_mul_f32_dpp v216, v13, v216 row_newbcast:8 row_mask:0xf bank_mask:0xf// 000000007DF8: 0BB1B0FA FF01580D
	v_mul_f32_dpp v217, v13, v217 row_newbcast:9 row_mask:0xf bank_mask:0xf// 000000007E00: 0BB3B2FA FF01590D
	v_mul_f32_dpp v218, v13, v218 row_newbcast:10 row_mask:0xf bank_mask:0xf// 000000007E08: 0BB5B4FA FF015A0D
	v_mul_f32_dpp v219, v13, v219 row_newbcast:11 row_mask:0xf bank_mask:0xf// 000000007E10: 0BB7B6FA FF015B0D
	v_pk_mul_f32 v[216:217], v[44:45], v[216:217]              // 000000007E18: D3B140D8 1803B12C
	v_pk_mul_f32 v[218:219], v[44:45], v[218:219]              // 000000007E20: D3B140DA 1803B52C
	v_cvt_f32_i32_e32 v224, v224                               // 000000007E28: 7FC00BE0
	v_cvt_f32_i32_e32 v225, v225                               // 000000007E2C: 7FC20BE1
	v_cvt_f32_i32_e32 v226, v226                               // 000000007E30: 7FC40BE2
	v_cvt_f32_i32_e32 v227, v227                               // 000000007E34: 7FC60BE3
	v_pk_mul_f32 v[224:225], v[42:43], v[224:225]              // 000000007E38: D3B140E0 1803C12A
	v_pk_mul_f32 v[226:227], v[42:43], v[226:227]              // 000000007E40: D3B140E2 1803C52A
	v_mul_f32_dpp v224, v13, v224 row_newbcast:12 row_mask:0xf bank_mask:0xf// 000000007E48: 0BC1C0FA FF015C0D
	v_mul_f32_dpp v225, v13, v225 row_newbcast:13 row_mask:0xf bank_mask:0xf// 000000007E50: 0BC3C2FA FF015D0D
	v_mul_f32_dpp v226, v13, v226 row_newbcast:14 row_mask:0xf bank_mask:0xf// 000000007E58: 0BC5C4FA FF015E0D
	v_mul_f32_dpp v227, v13, v227 row_newbcast:15 row_mask:0xf bank_mask:0xf// 000000007E60: 0BC7C6FA FF015F0D
	v_pk_mul_f32 v[224:225], v[44:45], v[224:225]              // 000000007E68: D3B140E0 1803C12C
	v_pk_mul_f32 v[226:227], v[44:45], v[226:227]              // 000000007E70: D3B140E2 1803C52C
	v_mov_b32_e32 v42, v25                                     // 000000007E78: 7E540319
	v_mov_b32_e32 v44, v21                                     // 000000007E7C: 7E580315
	v_mov_b32_e32 v43, v42                                     // 000000007E80: 7E56032A
	v_mov_b32_e32 v45, v44                                     // 000000007E84: 7E5A032C
	v_cvt_f32_i32_e32 v204, v204                               // 000000007E88: 7F980BCC
	v_cvt_f32_i32_e32 v205, v205                               // 000000007E8C: 7F9A0BCD
	v_cvt_f32_i32_e32 v206, v206                               // 000000007E90: 7F9C0BCE
	v_cvt_f32_i32_e32 v207, v207                               // 000000007E94: 7F9E0BCF
	v_pk_mul_f32 v[204:205], v[42:43], v[204:205]              // 000000007E98: D3B140CC 1803992A
	v_pk_mul_f32 v[206:207], v[42:43], v[206:207]              // 000000007EA0: D3B140CE 18039D2A
	v_mul_f32_dpp v204, v13, v204 row_newbcast:0 row_mask:0xf bank_mask:0xf// 000000007EA8: 0B9998FA FF01500D
	v_mul_f32_dpp v205, v13, v205 row_newbcast:1 row_mask:0xf bank_mask:0xf// 000000007EB0: 0B9B9AFA FF01510D
	v_mul_f32_dpp v206, v13, v206 row_newbcast:2 row_mask:0xf bank_mask:0xf// 000000007EB8: 0B9D9CFA FF01520D
	v_mul_f32_dpp v207, v13, v207 row_newbcast:3 row_mask:0xf bank_mask:0xf// 000000007EC0: 0B9F9EFA FF01530D
	v_pk_mul_f32 v[204:205], v[44:45], v[204:205]              // 000000007EC8: D3B140CC 1803992C
	v_pk_mul_f32 v[206:207], v[44:45], v[206:207]              // 000000007ED0: D3B140CE 18039D2C
	v_cvt_f32_i32_e32 v212, v212                               // 000000007ED8: 7FA80BD4
	v_cvt_f32_i32_e32 v213, v213                               // 000000007EDC: 7FAA0BD5
	v_cvt_f32_i32_e32 v214, v214                               // 000000007EE0: 7FAC0BD6
	v_cvt_f32_i32_e32 v215, v215                               // 000000007EE4: 7FAE0BD7
	v_pk_mul_f32 v[212:213], v[42:43], v[212:213]              // 000000007EE8: D3B140D4 1803A92A
	v_pk_mul_f32 v[214:215], v[42:43], v[214:215]              // 000000007EF0: D3B140D6 1803AD2A
	v_mul_f32_dpp v212, v13, v212 row_newbcast:4 row_mask:0xf bank_mask:0xf// 000000007EF8: 0BA9A8FA FF01540D
	v_mul_f32_dpp v213, v13, v213 row_newbcast:5 row_mask:0xf bank_mask:0xf// 000000007F00: 0BABAAFA FF01550D
	v_mul_f32_dpp v214, v13, v214 row_newbcast:6 row_mask:0xf bank_mask:0xf// 000000007F08: 0BADACFA FF01560D
	v_mul_f32_dpp v215, v13, v215 row_newbcast:7 row_mask:0xf bank_mask:0xf// 000000007F10: 0BAFAEFA FF01570D
	v_pk_mul_f32 v[212:213], v[44:45], v[212:213]              // 000000007F18: D3B140D4 1803A92C
	v_pk_mul_f32 v[214:215], v[44:45], v[214:215]              // 000000007F20: D3B140D6 1803AD2C
	v_cvt_f32_i32_e32 v220, v220                               // 000000007F28: 7FB80BDC
	v_cvt_f32_i32_e32 v221, v221                               // 000000007F2C: 7FBA0BDD
	v_cvt_f32_i32_e32 v222, v222                               // 000000007F30: 7FBC0BDE
	v_cvt_f32_i32_e32 v223, v223                               // 000000007F34: 7FBE0BDF
	v_pk_mul_f32 v[220:221], v[42:43], v[220:221]              // 000000007F38: D3B140DC 1803B92A
	v_pk_mul_f32 v[222:223], v[42:43], v[222:223]              // 000000007F40: D3B140DE 1803BD2A
	v_mul_f32_dpp v220, v13, v220 row_newbcast:8 row_mask:0xf bank_mask:0xf// 000000007F48: 0BB9B8FA FF01580D
	v_mul_f32_dpp v221, v13, v221 row_newbcast:9 row_mask:0xf bank_mask:0xf// 000000007F50: 0BBBBAFA FF01590D
	v_mul_f32_dpp v222, v13, v222 row_newbcast:10 row_mask:0xf bank_mask:0xf// 000000007F58: 0BBDBCFA FF015A0D
	v_mul_f32_dpp v223, v13, v223 row_newbcast:11 row_mask:0xf bank_mask:0xf// 000000007F60: 0BBFBEFA FF015B0D
	v_pk_mul_f32 v[220:221], v[44:45], v[220:221]              // 000000007F68: D3B140DC 1803B92C
	v_pk_mul_f32 v[222:223], v[44:45], v[222:223]              // 000000007F70: D3B140DE 1803BD2C
	v_cvt_f32_i32_e32 v228, v228                               // 000000007F78: 7FC80BE4
	v_cvt_f32_i32_e32 v229, v229                               // 000000007F7C: 7FCA0BE5
	v_cvt_f32_i32_e32 v230, v230                               // 000000007F80: 7FCC0BE6
	v_cvt_f32_i32_e32 v231, v231                               // 000000007F84: 7FCE0BE7
	v_pk_mul_f32 v[228:229], v[42:43], v[228:229]              // 000000007F88: D3B140E4 1803C92A
	v_pk_mul_f32 v[230:231], v[42:43], v[230:231]              // 000000007F90: D3B140E6 1803CD2A
	v_mul_f32_dpp v228, v13, v228 row_newbcast:12 row_mask:0xf bank_mask:0xf// 000000007F98: 0BC9C8FA FF015C0D
	v_mul_f32_dpp v229, v13, v229 row_newbcast:13 row_mask:0xf bank_mask:0xf// 000000007FA0: 0BCBCAFA FF015D0D
	v_mul_f32_dpp v230, v13, v230 row_newbcast:14 row_mask:0xf bank_mask:0xf// 000000007FA8: 0BCDCCFA FF015E0D
	v_mul_f32_dpp v231, v13, v231 row_newbcast:15 row_mask:0xf bank_mask:0xf// 000000007FB0: 0BCFCEFA FF015F0D
	v_pk_mul_f32 v[228:229], v[44:45], v[228:229]              // 000000007FB8: D3B140E4 1803C92C
	v_pk_mul_f32 v[230:231], v[44:45], v[230:231]              // 000000007FC0: D3B140E6 1803CD2C
	v_cmp_u_f32_e64 s[48:49], v200, v200                       // 000000007FC8: D0480030 000391C8
	v_add3_u32 v50, v200, v53, 1                               // 000000007FD0: D1FF0032 02066BC8
	v_cndmask_b32_e64 v42, v50, v52, s[48:49]                  // 000000007FD8: D100002A 00C26932
	v_cmp_u_f32_e64 s[48:49], v201, v201                       // 000000007FE0: D0480030 000393C9
	v_add3_u32 v50, v201, v53, 1                               // 000000007FE8: D1FF0032 02066BC9
	v_cndmask_b32_e64 v43, v50, v52, s[48:49]                  // 000000007FF0: D100002B 00C26932
	v_perm_b32 v200, v43, v42, s52                             // 000000007FF8: D1ED00C8 00D2552B
	v_cmp_u_f32_e64 s[48:49], v202, v202                       // 000000008000: D0480030 000395CA
	v_add3_u32 v50, v202, v53, 1                               // 000000008008: D1FF0032 02066BCA
	v_cndmask_b32_e64 v42, v50, v52, s[48:49]                  // 000000008010: D100002A 00C26932
	v_cmp_u_f32_e64 s[48:49], v203, v203                       // 000000008018: D0480030 000397CB
	v_add3_u32 v50, v203, v53, 1                               // 000000008020: D1FF0032 02066BCB
	v_cndmask_b32_e64 v43, v50, v52, s[48:49]                  // 000000008028: D100002B 00C26932
	v_perm_b32 v201, v43, v42, s52                             // 000000008030: D1ED00C9 00D2552B
	v_cmp_u_f32_e64 s[48:49], v204, v204                       // 000000008038: D0480030 000399CC
	v_add3_u32 v50, v204, v53, 1                               // 000000008040: D1FF0032 02066BCC
	v_cndmask_b32_e64 v42, v50, v52, s[48:49]                  // 000000008048: D100002A 00C26932
	v_cmp_u_f32_e64 s[48:49], v205, v205                       // 000000008050: D0480030 00039BCD
	v_add3_u32 v50, v205, v53, 1                               // 000000008058: D1FF0032 02066BCD
	v_cndmask_b32_e64 v43, v50, v52, s[48:49]                  // 000000008060: D100002B 00C26932
	v_perm_b32 v202, v43, v42, s52                             // 000000008068: D1ED00CA 00D2552B
	v_cmp_u_f32_e64 s[48:49], v206, v206                       // 000000008070: D0480030 00039DCE
	v_add3_u32 v50, v206, v53, 1                               // 000000008078: D1FF0032 02066BCE
	v_cndmask_b32_e64 v42, v50, v52, s[48:49]                  // 000000008080: D100002A 00C26932
	v_cmp_u_f32_e64 s[48:49], v207, v207                       // 000000008088: D0480030 00039FCF
	v_add3_u32 v50, v207, v53, 1                               // 000000008090: D1FF0032 02066BCF
	v_cndmask_b32_e64 v43, v50, v52, s[48:49]                  // 000000008098: D100002B 00C26932
	v_perm_b32 v203, v43, v42, s52                             // 0000000080A0: D1ED00CB 00D2552B
	v_cmp_u_f32_e64 s[48:49], v208, v208                       // 0000000080A8: D0480030 0003A1D0
	v_add3_u32 v50, v208, v53, 1                               // 0000000080B0: D1FF0032 02066BD0
	v_cndmask_b32_e64 v42, v50, v52, s[48:49]                  // 0000000080B8: D100002A 00C26932
	v_cmp_u_f32_e64 s[48:49], v209, v209                       // 0000000080C0: D0480030 0003A3D1
	v_add3_u32 v50, v209, v53, 1                               // 0000000080C8: D1FF0032 02066BD1
	v_cndmask_b32_e64 v43, v50, v52, s[48:49]                  // 0000000080D0: D100002B 00C26932
	v_perm_b32 v204, v43, v42, s52                             // 0000000080D8: D1ED00CC 00D2552B
	v_cmp_u_f32_e64 s[48:49], v210, v210                       // 0000000080E0: D0480030 0003A5D2
	v_add3_u32 v50, v210, v53, 1                               // 0000000080E8: D1FF0032 02066BD2
	v_cndmask_b32_e64 v42, v50, v52, s[48:49]                  // 0000000080F0: D100002A 00C26932
	v_cmp_u_f32_e64 s[48:49], v211, v211                       // 0000000080F8: D0480030 0003A7D3
	v_add3_u32 v50, v211, v53, 1                               // 000000008100: D1FF0032 02066BD3
	v_cndmask_b32_e64 v43, v50, v52, s[48:49]                  // 000000008108: D100002B 00C26932
	v_perm_b32 v205, v43, v42, s52                             // 000000008110: D1ED00CD 00D2552B
	v_cmp_u_f32_e64 s[48:49], v212, v212                       // 000000008118: D0480030 0003A9D4
	v_add3_u32 v50, v212, v53, 1                               // 000000008120: D1FF0032 02066BD4
	v_cndmask_b32_e64 v42, v50, v52, s[48:49]                  // 000000008128: D100002A 00C26932
	v_cmp_u_f32_e64 s[48:49], v213, v213                       // 000000008130: D0480030 0003ABD5
	v_add3_u32 v50, v213, v53, 1                               // 000000008138: D1FF0032 02066BD5
	v_cndmask_b32_e64 v43, v50, v52, s[48:49]                  // 000000008140: D100002B 00C26932
	v_perm_b32 v206, v43, v42, s52                             // 000000008148: D1ED00CE 00D2552B
	v_cmp_u_f32_e64 s[48:49], v214, v214                       // 000000008150: D0480030 0003ADD6
	v_add3_u32 v50, v214, v53, 1                               // 000000008158: D1FF0032 02066BD6
	v_cndmask_b32_e64 v42, v50, v52, s[48:49]                  // 000000008160: D100002A 00C26932
	v_cmp_u_f32_e64 s[48:49], v215, v215                       // 000000008168: D0480030 0003AFD7
	v_add3_u32 v50, v215, v53, 1                               // 000000008170: D1FF0032 02066BD7
	v_cndmask_b32_e64 v43, v50, v52, s[48:49]                  // 000000008178: D100002B 00C26932
	v_perm_b32 v207, v43, v42, s52                             // 000000008180: D1ED00CF 00D2552B
	v_cmp_u_f32_e64 s[48:49], v216, v216                       // 000000008188: D0480030 0003B1D8
	v_add3_u32 v50, v216, v53, 1                               // 000000008190: D1FF0032 02066BD8
	v_cndmask_b32_e64 v42, v50, v52, s[48:49]                  // 000000008198: D100002A 00C26932
	v_cmp_u_f32_e64 s[48:49], v217, v217                       // 0000000081A0: D0480030 0003B3D9
	v_add3_u32 v50, v217, v53, 1                               // 0000000081A8: D1FF0032 02066BD9
	v_cndmask_b32_e64 v43, v50, v52, s[48:49]                  // 0000000081B0: D100002B 00C26932
	v_perm_b32 v208, v43, v42, s52                             // 0000000081B8: D1ED00D0 00D2552B
	v_cmp_u_f32_e64 s[48:49], v218, v218                       // 0000000081C0: D0480030 0003B5DA
	v_add3_u32 v50, v218, v53, 1                               // 0000000081C8: D1FF0032 02066BDA
	v_cndmask_b32_e64 v42, v50, v52, s[48:49]                  // 0000000081D0: D100002A 00C26932
	v_cmp_u_f32_e64 s[48:49], v219, v219                       // 0000000081D8: D0480030 0003B7DB
	v_add3_u32 v50, v219, v53, 1                               // 0000000081E0: D1FF0032 02066BDB
	v_cndmask_b32_e64 v43, v50, v52, s[48:49]                  // 0000000081E8: D100002B 00C26932
	v_perm_b32 v209, v43, v42, s52                             // 0000000081F0: D1ED00D1 00D2552B
	v_cmp_u_f32_e64 s[48:49], v220, v220                       // 0000000081F8: D0480030 0003B9DC
	v_add3_u32 v50, v220, v53, 1                               // 000000008200: D1FF0032 02066BDC
	v_cndmask_b32_e64 v42, v50, v52, s[48:49]                  // 000000008208: D100002A 00C26932
	v_cmp_u_f32_e64 s[48:49], v221, v221                       // 000000008210: D0480030 0003BBDD
	v_add3_u32 v50, v221, v53, 1                               // 000000008218: D1FF0032 02066BDD
	v_cndmask_b32_e64 v43, v50, v52, s[48:49]                  // 000000008220: D100002B 00C26932
	v_perm_b32 v210, v43, v42, s52                             // 000000008228: D1ED00D2 00D2552B
	v_cmp_u_f32_e64 s[48:49], v222, v222                       // 000000008230: D0480030 0003BDDE
	v_add3_u32 v50, v222, v53, 1                               // 000000008238: D1FF0032 02066BDE
	v_cndmask_b32_e64 v42, v50, v52, s[48:49]                  // 000000008240: D100002A 00C26932
	v_cmp_u_f32_e64 s[48:49], v223, v223                       // 000000008248: D0480030 0003BFDF
	v_add3_u32 v50, v223, v53, 1                               // 000000008250: D1FF0032 02066BDF
	v_cndmask_b32_e64 v43, v50, v52, s[48:49]                  // 000000008258: D100002B 00C26932
	v_perm_b32 v211, v43, v42, s52                             // 000000008260: D1ED00D3 00D2552B
	v_cmp_u_f32_e64 s[48:49], v224, v224                       // 000000008268: D0480030 0003C1E0
	v_add3_u32 v50, v224, v53, 1                               // 000000008270: D1FF0032 02066BE0
	v_cndmask_b32_e64 v42, v50, v52, s[48:49]                  // 000000008278: D100002A 00C26932
	v_cmp_u_f32_e64 s[48:49], v225, v225                       // 000000008280: D0480030 0003C3E1
	v_add3_u32 v50, v225, v53, 1                               // 000000008288: D1FF0032 02066BE1
	v_cndmask_b32_e64 v43, v50, v52, s[48:49]                  // 000000008290: D100002B 00C26932
	v_perm_b32 v212, v43, v42, s52                             // 000000008298: D1ED00D4 00D2552B
	v_cmp_u_f32_e64 s[48:49], v226, v226                       // 0000000082A0: D0480030 0003C5E2
	v_add3_u32 v50, v226, v53, 1                               // 0000000082A8: D1FF0032 02066BE2
	v_cndmask_b32_e64 v42, v50, v52, s[48:49]                  // 0000000082B0: D100002A 00C26932
	v_cmp_u_f32_e64 s[48:49], v227, v227                       // 0000000082B8: D0480030 0003C7E3
	v_add3_u32 v50, v227, v53, 1                               // 0000000082C0: D1FF0032 02066BE3
	v_cndmask_b32_e64 v43, v50, v52, s[48:49]                  // 0000000082C8: D100002B 00C26932
	v_perm_b32 v213, v43, v42, s52                             // 0000000082D0: D1ED00D5 00D2552B
	v_cmp_u_f32_e64 s[48:49], v228, v228                       // 0000000082D8: D0480030 0003C9E4
	v_add3_u32 v50, v228, v53, 1                               // 0000000082E0: D1FF0032 02066BE4
	v_cndmask_b32_e64 v42, v50, v52, s[48:49]                  // 0000000082E8: D100002A 00C26932
	v_cmp_u_f32_e64 s[48:49], v229, v229                       // 0000000082F0: D0480030 0003CBE5
	v_add3_u32 v50, v229, v53, 1                               // 0000000082F8: D1FF0032 02066BE5
	v_cndmask_b32_e64 v43, v50, v52, s[48:49]                  // 000000008300: D100002B 00C26932
	v_perm_b32 v214, v43, v42, s52                             // 000000008308: D1ED00D6 00D2552B
	v_cmp_u_f32_e64 s[48:49], v230, v230                       // 000000008310: D0480030 0003CDE6
	v_add3_u32 v50, v230, v53, 1                               // 000000008318: D1FF0032 02066BE6
	v_cndmask_b32_e64 v42, v50, v52, s[48:49]                  // 000000008320: D100002A 00C26932
	v_cmp_u_f32_e64 s[48:49], v231, v231                       // 000000008328: D0480030 0003CFE7
	v_add3_u32 v50, v231, v53, 1                               // 000000008330: D1FF0032 02066BE7
	v_cndmask_b32_e64 v43, v50, v52, s[48:49]                  // 000000008338: D100002B 00C26932
	v_perm_b32 v215, v43, v42, s52                             // 000000008340: D1ED00D7 00D2552B
	s_cmp_ge_u32 s80, 0x200                                    // 000000008348: BF09FF50 00000200
	s_cselect_b32 s59, 0x200, s59                              // 000000008350: 853B3BFF 00000200
	s_setvskip s20, 0                                          // 000000008358: BF108014
	global_atomic_pk_add_bf16 v80, v64, s[8:9]                 // 00000000835C: DD488000 00084050
	s_setvskip 0, 0                                            // 000000008364: BF108080
	s_setvskip s20, 0                                          // 000000008368: BF108014
	global_atomic_pk_add_bf16 v80, v65, s[8:9] offset:256      // 00000000836C: DD488100 00084150
	s_setvskip 0, 0                                            // 000000008374: BF108080
	s_setvskip s20, 1                                          // 000000008378: BF108114
	global_atomic_pk_add_bf16 v82, v66, s[8:9]                 // 00000000837C: DD488000 00084252
	s_setvskip 0, 0                                            // 000000008384: BF108080
	s_setvskip s20, 1                                          // 000000008388: BF108114
	global_atomic_pk_add_bf16 v82, v67, s[8:9] offset:256      // 00000000838C: DD488100 00084352
	s_setvskip 0, 0                                            // 000000008394: BF108080
	s_setvskip s20, 2                                          // 000000008398: BF108214
	global_atomic_pk_add_bf16 v84, v68, s[8:9]                 // 00000000839C: DD488000 00084454
	s_setvskip 0, 0                                            // 0000000083A4: BF108080
	s_setvskip s20, 2                                          // 0000000083A8: BF108214
	global_atomic_pk_add_bf16 v84, v69, s[8:9] offset:256      // 0000000083AC: DD488100 00084554
	s_setvskip 0, 0                                            // 0000000083B4: BF108080
	s_setvskip s20, 3                                          // 0000000083B8: BF108314
	global_atomic_pk_add_bf16 v86, v70, s[8:9]                 // 0000000083BC: DD488000 00084656
	s_setvskip 0, 0                                            // 0000000083C4: BF108080
	s_setvskip s20, 3                                          // 0000000083C8: BF108314
	global_atomic_pk_add_bf16 v86, v71, s[8:9] offset:256      // 0000000083CC: DD488100 00084756
	s_setvskip 0, 0                                            // 0000000083D4: BF108080
	s_setvskip s20, 4                                          // 0000000083D8: BF108414
	global_atomic_pk_add_bf16 v88, v72, s[8:9]                 // 0000000083DC: DD488000 00084858
	s_setvskip 0, 0                                            // 0000000083E4: BF108080
	s_setvskip s20, 4                                          // 0000000083E8: BF108414
	global_atomic_pk_add_bf16 v88, v73, s[8:9] offset:256      // 0000000083EC: DD488100 00084958
	s_setvskip 0, 0                                            // 0000000083F4: BF108080
	s_setvskip s20, 5                                          // 0000000083F8: BF108514
	global_atomic_pk_add_bf16 v90, v74, s[8:9]                 // 0000000083FC: DD488000 00084A5A
	s_setvskip 0, 0                                            // 000000008404: BF108080
	s_setvskip s20, 5                                          // 000000008408: BF108514
	global_atomic_pk_add_bf16 v90, v75, s[8:9] offset:256      // 00000000840C: DD488100 00084B5A
	s_setvskip 0, 0                                            // 000000008414: BF108080
	s_setvskip s20, 6                                          // 000000008418: BF108614
	global_atomic_pk_add_bf16 v92, v76, s[8:9]                 // 00000000841C: DD488000 00084C5C
	s_setvskip 0, 0                                            // 000000008424: BF108080
	s_setvskip s20, 6                                          // 000000008428: BF108614
	global_atomic_pk_add_bf16 v92, v77, s[8:9] offset:256      // 00000000842C: DD488100 00084D5C
	s_setvskip 0, 0                                            // 000000008434: BF108080
	s_setvskip s20, 7                                          // 000000008438: BF108714
	global_atomic_pk_add_bf16 v94, v78, s[8:9]                 // 00000000843C: DD488000 00084E5E
	s_setvskip 0, 0                                            // 000000008444: BF108080
	s_setvskip s20, 7                                          // 000000008448: BF108714
	global_atomic_pk_add_bf16 v94, v79, s[8:9] offset:256      // 00000000844C: DD488100 00084F5E
	s_setvskip 0, 0                                            // 000000008454: BF108080
	s_add_u32 s8, s59, s8                                      // 000000008458: 8008083B
	s_addc_u32 s9, 0, s9                                       // 00000000845C: 82090980
	s_addk_i32 s80, 0x100                                      // 000000008460: B7500100
	s_cmp_lt_i32 s80, s81                                      // 000000008464: BF045150
	s_cbranch_scc0 label_165C                                  // 000000008468: BF840001
	s_branch label_1095                                        // 00000000846C: BF82FA39

0000000000008470 <label_165C>:
	s_nop 0                                                    // 000000008470: BF800000
	s_nop 0                                                    // 000000008474: BF800000
	s_branch label_28C2                                        // 000000008478: BF821263

000000000000847c <label_165F>:
	v_mov_b32_e32 v240, v24                                    // 00000000847C: 7FE00318
	v_mov_b32_e32 v242, v25                                    // 000000008480: 7FE40319
	v_mov_b32_e32 v241, v240                                   // 000000008484: 7FE203F0
	v_mov_b32_e32 v243, v242                                   // 000000008488: 7FE603F2
	s_waitcnt vmcnt(12) lgkmcnt(0)                             // 00000000848C: BF8C007C
	s_barrier                                                  // 000000008490: BF8A0000
	v_mfma_i32_16x16x32_i8 v[232:235], a[0:1], v[168:169], 0   // 000000008494: D3D700E8 0A035100
	buffer_load_dwordx4 a[80:83], v36, s[92:95], 0 offen       // 00000000849C: E05C1000 80975024
	v_mfma_i32_16x16x32_i8 v[232:235], a[2:3], v[170:171], v[232:235]// 0000000084A4: D3D700E8 0FA35502
	v_mfma_i32_16x16x32_i8 v[232:235], a[4:5], v[172:173], v[232:235]// 0000000084AC: D3D700E8 0FA35904
	buffer_load_dword v28, s[20:23], 0 offen lds               // 0000000084B4: E0511000 8005001C
	buffer_load_dword v28, s[20:23], 0 offen offset:256 lds    // 0000000084BC: E0511100 8005001C
	s_add_u32 m0, 0x820, s51                                   // 0000000084C4: 807C33FF 00000820
	v_mfma_i32_16x16x32_i8 v[232:235], a[6:7], v[174:175], v[232:235]// 0000000084CC: D3D700E8 0FA35D06
	v_mfma_i32_16x16x32_i8 v[232:235], a[8:9], v[176:177], v[232:235]// 0000000084D4: D3D700E8 0FA36108
	buffer_load_dwordx4 a[84:87], v36, s[92:95], 0 offen offset:1024// 0000000084DC: E05C1400 80975424
	v_mfma_i32_16x16x32_i8 v[232:235], a[10:11], v[178:179], v[232:235]// 0000000084E4: D3D700E8 0FA3650A
	v_mfma_i32_16x16x32_i8 v[232:235], a[12:13], v[180:181], v[232:235]// 0000000084EC: D3D700E8 0FA3690C
	buffer_load_dword v29, s[20:23], 0 offen lds               // 0000000084F4: E0511000 8005001D
	buffer_load_dword v29, s[20:23], 0 offen offset:256 lds    // 0000000084FC: E0511100 8005001D
	s_add_u32 m0, 0x1040, s51                                  // 000000008504: 807C33FF 00001040
	v_mfma_i32_16x16x32_i8 v[232:235], a[14:15], v[182:183], v[232:235]// 00000000850C: D3D700E8 0FA36D0E
	v_mfma_i32_16x16x32_i8 v[236:239], a[0:1], v[184:185], 0   // 000000008514: D3D700EC 0A037100
	buffer_load_dwordx4 a[88:91], v36, s[92:95], 0 offen offset:2048// 00000000851C: E05C1800 80975824
	v_mfma_i32_16x16x32_i8 v[236:239], a[2:3], v[186:187], v[236:239]// 000000008524: D3D700EC 0FB37502
	v_mfma_i32_16x16x32_i8 v[236:239], a[4:5], v[188:189], v[236:239]// 00000000852C: D3D700EC 0FB37904
	buffer_load_dword v30, s[20:23], 0 offen lds               // 000000008534: E0511000 8005001E
	buffer_load_dword v30, s[20:23], 0 offen offset:256 lds    // 00000000853C: E0511100 8005001E
	s_add_u32 m0, 0x1860, s51                                  // 000000008544: 807C33FF 00001860
	v_mfma_i32_16x16x32_i8 v[236:239], a[6:7], v[190:191], v[236:239]// 00000000854C: D3D700EC 0FB37D06
	v_mfma_i32_16x16x32_i8 v[236:239], a[8:9], v[192:193], v[236:239]// 000000008554: D3D700EC 0FB38108
	buffer_load_dwordx4 a[92:95], v36, s[92:95], 0 offen offset:3072// 00000000855C: E05C1C00 80975C24
	v_mfma_i32_16x16x32_i8 v[236:239], a[10:11], v[194:195], v[236:239]// 000000008564: D3D700EC 0FB3850A
	v_mfma_i32_16x16x32_i8 v[236:239], a[12:13], v[196:197], v[236:239]// 00000000856C: D3D700EC 0FB3890C
	buffer_load_dword v31, s[20:23], 0 offen lds               // 000000008574: E0511000 8005001F
	buffer_load_dword v31, s[20:23], 0 offen offset:256 lds    // 00000000857C: E0511100 8005001F
	s_add_u32 m0, 0x2080, s51                                  // 000000008584: 807C33FF 00002080
	v_mfma_i32_16x16x32_i8 v[236:239], a[14:15], v[198:199], v[236:239]// 00000000858C: D3D700EC 0FB38D0E
	v_cvt_f32_i32_e32 v232, v232                               // 000000008594: 7FD00BE8
	v_cvt_f32_i32_e32 v233, v233                               // 000000008598: 7FD20BE9
	v_cvt_f32_i32_e32 v234, v234                               // 00000000859C: 7FD40BEA
	v_cvt_f32_i32_e32 v235, v235                               // 0000000085A0: 7FD60BEB
	v_pk_fma_f32 v[128:129], v[232:233], v[240:241], v[128:129]// 0000000085A4: D3B04080 1E03E1E8
	v_pk_fma_f32 v[130:131], v[234:235], v[240:241], v[130:131]// 0000000085AC: D3B04082 1E0BE1EA
	v_mfma_i32_16x16x32_i8 v[232:235], a[16:17], v[168:169], 0 // 0000000085B4: D3D700E8 0A035110
	buffer_load_dwordx4 a[96:99], v37, s[92:95], 0 offen       // 0000000085BC: E05C1000 80976025
	v_mfma_i32_16x16x32_i8 v[232:235], a[18:19], v[170:171], v[232:235]// 0000000085C4: D3D700E8 0FA35512
	v_mfma_i32_16x16x32_i8 v[232:235], a[20:21], v[172:173], v[232:235]// 0000000085CC: D3D700E8 0FA35914
	buffer_load_dword v32, s[20:23], 0 offen lds               // 0000000085D4: E0511000 80050020
	buffer_load_dword v32, s[20:23], 0 offen offset:256 lds    // 0000000085DC: E0511100 80050020
	s_add_u32 m0, 0x28a0, s51                                  // 0000000085E4: 807C33FF 000028A0
	v_mfma_i32_16x16x32_i8 v[232:235], a[22:23], v[174:175], v[232:235]// 0000000085EC: D3D700E8 0FA35D16
	v_mfma_i32_16x16x32_i8 v[232:235], a[24:25], v[176:177], v[232:235]// 0000000085F4: D3D700E8 0FA36118
	buffer_load_dwordx4 a[100:103], v37, s[92:95], 0 offen offset:1024// 0000000085FC: E05C1400 80976425
	v_mfma_i32_16x16x32_i8 v[232:235], a[26:27], v[178:179], v[232:235]// 000000008604: D3D700E8 0FA3651A
	v_mfma_i32_16x16x32_i8 v[232:235], a[28:29], v[180:181], v[232:235]// 00000000860C: D3D700E8 0FA3691C
	buffer_load_dword v33, s[20:23], 0 offen lds               // 000000008614: E0511000 80050021
	buffer_load_dword v33, s[20:23], 0 offen offset:256 lds    // 00000000861C: E0511100 80050021
	s_add_u32 m0, 0x30c0, s51                                  // 000000008624: 807C33FF 000030C0
	v_mfma_i32_16x16x32_i8 v[232:235], a[30:31], v[182:183], v[232:235]// 00000000862C: D3D700E8 0FA36D1E
	v_cvt_f32_i32_e32 v236, v236                               // 000000008634: 7FD80BEC
	v_cvt_f32_i32_e32 v237, v237                               // 000000008638: 7FDA0BED
	v_cvt_f32_i32_e32 v238, v238                               // 00000000863C: 7FDC0BEE
	v_cvt_f32_i32_e32 v239, v239                               // 000000008640: 7FDE0BEF
	v_pk_fma_f32 v[132:133], v[236:237], v[242:243], v[132:133]// 000000008644: D3B04084 1E13E5EC
	v_pk_fma_f32 v[134:135], v[238:239], v[242:243], v[134:135]// 00000000864C: D3B04086 1E1BE5EE
	v_mfma_i32_16x16x32_i8 v[236:239], a[16:17], v[184:185], 0 // 000000008654: D3D700EC 0A037110
	buffer_load_dwordx4 a[104:107], v37, s[92:95], 0 offen offset:2048// 00000000865C: E05C1800 80976825
	v_mfma_i32_16x16x32_i8 v[236:239], a[18:19], v[186:187], v[236:239]// 000000008664: D3D700EC 0FB37512
	v_mfma_i32_16x16x32_i8 v[236:239], a[20:21], v[188:189], v[236:239]// 00000000866C: D3D700EC 0FB37914
	buffer_load_dword v34, s[20:23], 0 offen lds               // 000000008674: E0511000 80050022
	buffer_load_dword v34, s[20:23], 0 offen offset:256 lds    // 00000000867C: E0511100 80050022
	s_add_u32 m0, 0x38e0, s51                                  // 000000008684: 807C33FF 000038E0
	v_mfma_i32_16x16x32_i8 v[236:239], a[22:23], v[190:191], v[236:239]// 00000000868C: D3D700EC 0FB37D16
	v_mfma_i32_16x16x32_i8 v[236:239], a[24:25], v[192:193], v[236:239]// 000000008694: D3D700EC 0FB38118
	buffer_load_dwordx4 a[108:111], v37, s[92:95], 0 offen offset:3072// 00000000869C: E05C1C00 80976C25
	v_mfma_i32_16x16x32_i8 v[236:239], a[26:27], v[194:195], v[236:239]// 0000000086A4: D3D700EC 0FB3851A
	v_mfma_i32_16x16x32_i8 v[236:239], a[28:29], v[196:197], v[236:239]// 0000000086AC: D3D700EC 0FB3891C
	buffer_load_dword v35, s[20:23], 0 offen lds               // 0000000086B4: E0511000 80050023
	buffer_load_dword v35, s[20:23], 0 offen offset:256 lds    // 0000000086BC: E0511100 80050023
	s_add_u32 m0, 0, s50                                       // 0000000086C4: 807C3280
	v_mfma_i32_16x16x32_i8 v[236:239], a[30:31], v[198:199], v[236:239]// 0000000086C8: D3D700EC 0FB38D1E
	buffer_load_dword v15, v6, s[28:31], 0 offen               // 0000000086D0: E0501000 80070F06
	v_cvt_f32_i32_e32 v232, v232                               // 0000000086D8: 7FD00BE8
	v_cvt_f32_i32_e32 v233, v233                               // 0000000086DC: 7FD20BE9
	v_cvt_f32_i32_e32 v234, v234                               // 0000000086E0: 7FD40BEA
	v_cvt_f32_i32_e32 v235, v235                               // 0000000086E4: 7FD60BEB
	v_pk_fma_f32 v[136:137], v[232:233], v[240:241], v[136:137]// 0000000086E8: D3B04088 1E23E1E8
	v_pk_fma_f32 v[138:139], v[234:235], v[240:241], v[138:139]// 0000000086F0: D3B0408A 1E2BE1EA
	s_waitcnt vmcnt(33)                                        // 0000000086F8: BF8C8F71
	v_mfma_i32_16x16x32_i8 v[232:235], a[32:33], v[168:169], 0 // 0000000086FC: D3D700E8 0A035120
	buffer_load_dwordx4 a[112:115], v38, s[92:95], 0 offen     // 000000008704: E05C1000 80977026
	v_mfma_i32_16x16x32_i8 v[232:235], a[34:35], v[170:171], v[232:235]// 00000000870C: D3D700E8 0FA35522
	v_mfma_i32_16x16x32_i8 v[232:235], a[36:37], v[172:173], v[232:235]// 000000008714: D3D700E8 0FA35924
	v_mfma_i32_16x16x32_i8 v[232:235], a[38:39], v[174:175], v[232:235]// 00000000871C: D3D700E8 0FA35D26
	v_mfma_i32_16x16x32_i8 v[232:235], a[40:41], v[176:177], v[232:235]// 000000008724: D3D700E8 0FA36128
	buffer_load_dwordx4 a[116:119], v38, s[92:95], 0 offen offset:1024// 00000000872C: E05C1400 80977426
	v_mfma_i32_16x16x32_i8 v[232:235], a[42:43], v[178:179], v[232:235]// 000000008734: D3D700E8 0FA3652A
	v_mfma_i32_16x16x32_i8 v[232:235], a[44:45], v[180:181], v[232:235]// 00000000873C: D3D700E8 0FA3692C
	v_mfma_i32_16x16x32_i8 v[232:235], a[46:47], v[182:183], v[232:235]// 000000008744: D3D700E8 0FA36D2E
	v_cvt_f32_i32_e32 v236, v236                               // 00000000874C: 7FD80BEC
	v_cvt_f32_i32_e32 v237, v237                               // 000000008750: 7FDA0BED
	v_cvt_f32_i32_e32 v238, v238                               // 000000008754: 7FDC0BEE
	v_cvt_f32_i32_e32 v239, v239                               // 000000008758: 7FDE0BEF
	v_pk_fma_f32 v[140:141], v[236:237], v[242:243], v[140:141]// 00000000875C: D3B0408C 1E33E5EC
	v_pk_fma_f32 v[142:143], v[238:239], v[242:243], v[142:143]// 000000008764: D3B0408E 1E3BE5EE
	v_mfma_i32_16x16x32_i8 v[236:239], a[32:33], v[184:185], 0 // 00000000876C: D3D700EC 0A037120
	buffer_load_dwordx4 a[120:123], v38, s[92:95], 0 offen offset:2048// 000000008774: E05C1800 80977826
	v_mfma_i32_16x16x32_i8 v[236:239], a[34:35], v[186:187], v[236:239]// 00000000877C: D3D700EC 0FB37522
	v_mfma_i32_16x16x32_i8 v[236:239], a[36:37], v[188:189], v[236:239]// 000000008784: D3D700EC 0FB37924
	v_mfma_i32_16x16x32_i8 v[236:239], a[38:39], v[190:191], v[236:239]// 00000000878C: D3D700EC 0FB37D26
	v_mfma_i32_16x16x32_i8 v[236:239], a[40:41], v[192:193], v[236:239]// 000000008794: D3D700EC 0FB38128
	buffer_load_dwordx4 a[124:127], v38, s[92:95], 0 offen offset:3072// 00000000879C: E05C1C00 80977C26
	v_mfma_i32_16x16x32_i8 v[236:239], a[42:43], v[194:195], v[236:239]// 0000000087A4: D3D700EC 0FB3852A
	v_mfma_i32_16x16x32_i8 v[236:239], a[44:45], v[196:197], v[236:239]// 0000000087AC: D3D700EC 0FB3892C
	v_mfma_i32_16x16x32_i8 v[236:239], a[46:47], v[198:199], v[236:239]// 0000000087B4: D3D700EC 0FB38D2E
	v_cvt_f32_i32_e32 v232, v232                               // 0000000087BC: 7FD00BE8
	v_cvt_f32_i32_e32 v233, v233                               // 0000000087C0: 7FD20BE9
	v_cvt_f32_i32_e32 v234, v234                               // 0000000087C4: 7FD40BEA
	v_cvt_f32_i32_e32 v235, v235                               // 0000000087C8: 7FD60BEB
	v_pk_fma_f32 v[144:145], v[232:233], v[240:241], v[144:145]// 0000000087CC: D3B04090 1E43E1E8
	v_pk_fma_f32 v[146:147], v[234:235], v[240:241], v[146:147]// 0000000087D4: D3B04092 1E4BE1EA
	s_waitcnt vmcnt(33)                                        // 0000000087DC: BF8C8F71
	v_mfma_i32_16x16x32_i8 v[232:235], a[48:49], v[168:169], 0 // 0000000087E0: D3D700E8 0A035130
	buffer_load_dwordx4 a[128:131], v39, s[92:95], 0 offen     // 0000000087E8: E05C1000 80978027
	v_mfma_i32_16x16x32_i8 v[232:235], a[50:51], v[170:171], v[232:235]// 0000000087F0: D3D700E8 0FA35532
	v_mfma_i32_16x16x32_i8 v[232:235], a[52:53], v[172:173], v[232:235]// 0000000087F8: D3D700E8 0FA35934
	v_mfma_i32_16x16x32_i8 v[232:235], a[54:55], v[174:175], v[232:235]// 000000008800: D3D700E8 0FA35D36
	v_mfma_i32_16x16x32_i8 v[232:235], a[56:57], v[176:177], v[232:235]// 000000008808: D3D700E8 0FA36138
	buffer_load_dwordx4 a[132:135], v39, s[92:95], 0 offen offset:1024// 000000008810: E05C1400 80978427
	v_mfma_i32_16x16x32_i8 v[232:235], a[58:59], v[178:179], v[232:235]// 000000008818: D3D700E8 0FA3653A
	v_mfma_i32_16x16x32_i8 v[232:235], a[60:61], v[180:181], v[232:235]// 000000008820: D3D700E8 0FA3693C
	v_mfma_i32_16x16x32_i8 v[232:235], a[62:63], v[182:183], v[232:235]// 000000008828: D3D700E8 0FA36D3E
	v_cvt_f32_i32_e32 v236, v236                               // 000000008830: 7FD80BEC
	v_cvt_f32_i32_e32 v237, v237                               // 000000008834: 7FDA0BED
	v_cvt_f32_i32_e32 v238, v238                               // 000000008838: 7FDC0BEE
	v_cvt_f32_i32_e32 v239, v239                               // 00000000883C: 7FDE0BEF
	v_pk_fma_f32 v[148:149], v[236:237], v[242:243], v[148:149]// 000000008840: D3B04094 1E53E5EC
	v_pk_fma_f32 v[150:151], v[238:239], v[242:243], v[150:151]// 000000008848: D3B04096 1E5BE5EE
	v_mfma_i32_16x16x32_i8 v[236:239], a[48:49], v[184:185], 0 // 000000008850: D3D700EC 0A037130
	buffer_load_dwordx4 a[136:139], v39, s[92:95], 0 offen offset:2048// 000000008858: E05C1800 80978827
	v_mfma_i32_16x16x32_i8 v[236:239], a[50:51], v[186:187], v[236:239]// 000000008860: D3D700EC 0FB37532
	v_mfma_i32_16x16x32_i8 v[236:239], a[52:53], v[188:189], v[236:239]// 000000008868: D3D700EC 0FB37934
	v_mfma_i32_16x16x32_i8 v[236:239], a[54:55], v[190:191], v[236:239]// 000000008870: D3D700EC 0FB37D36
	v_mfma_i32_16x16x32_i8 v[236:239], a[56:57], v[192:193], v[236:239]// 000000008878: D3D700EC 0FB38138
	buffer_load_dwordx4 a[140:143], v39, s[92:95], 0 offen offset:3072// 000000008880: E05C1C00 80978C27
	v_mfma_i32_16x16x32_i8 v[236:239], a[58:59], v[194:195], v[236:239]// 000000008888: D3D700EC 0FB3853A
	v_mfma_i32_16x16x32_i8 v[236:239], a[60:61], v[196:197], v[236:239]// 000000008890: D3D700EC 0FB3893C
	v_mfma_i32_16x16x32_i8 v[236:239], a[62:63], v[198:199], v[236:239]// 000000008898: D3D700EC 0FB38D3E
	v_cvt_f32_i32_e32 v232, v232                               // 0000000088A0: 7FD00BE8
	v_cvt_f32_i32_e32 v233, v233                               // 0000000088A4: 7FD20BE9
	v_cvt_f32_i32_e32 v234, v234                               // 0000000088A8: 7FD40BEA
	v_cvt_f32_i32_e32 v235, v235                               // 0000000088AC: 7FD60BEB
	v_pk_fma_f32 v[152:153], v[232:233], v[240:241], v[152:153]// 0000000088B0: D3B04098 1E63E1E8
	v_pk_fma_f32 v[154:155], v[234:235], v[240:241], v[154:155]// 0000000088B8: D3B0409A 1E6BE1EA
	s_waitcnt vmcnt(33)                                        // 0000000088C0: BF8C8F71
	v_mfma_i32_16x16x32_i8 v[232:235], a[64:65], v[168:169], 0 // 0000000088C4: D3D700E8 0A035140
	buffer_load_dwordx4 a[144:147], v40, s[92:95], 0 offen     // 0000000088CC: E05C1000 80979028
	v_mfma_i32_16x16x32_i8 v[232:235], a[66:67], v[170:171], v[232:235]// 0000000088D4: D3D700E8 0FA35542
	v_mfma_i32_16x16x32_i8 v[232:235], a[68:69], v[172:173], v[232:235]// 0000000088DC: D3D700E8 0FA35944
	v_mfma_i32_16x16x32_i8 v[232:235], a[70:71], v[174:175], v[232:235]// 0000000088E4: D3D700E8 0FA35D46
	v_mfma_i32_16x16x32_i8 v[232:235], a[72:73], v[176:177], v[232:235]// 0000000088EC: D3D700E8 0FA36148
	buffer_load_dwordx4 a[148:151], v40, s[92:95], 0 offen offset:1024// 0000000088F4: E05C1400 80979428
	v_mfma_i32_16x16x32_i8 v[232:235], a[74:75], v[178:179], v[232:235]// 0000000088FC: D3D700E8 0FA3654A
	v_mfma_i32_16x16x32_i8 v[232:235], a[76:77], v[180:181], v[232:235]// 000000008904: D3D700E8 0FA3694C
	v_mfma_i32_16x16x32_i8 v[232:235], a[78:79], v[182:183], v[232:235]// 00000000890C: D3D700E8 0FA36D4E
	v_cvt_f32_i32_e32 v236, v236                               // 000000008914: 7FD80BEC
	v_cvt_f32_i32_e32 v237, v237                               // 000000008918: 7FDA0BED
	v_cvt_f32_i32_e32 v238, v238                               // 00000000891C: 7FDC0BEE
	v_cvt_f32_i32_e32 v239, v239                               // 000000008920: 7FDE0BEF
	v_pk_fma_f32 v[156:157], v[236:237], v[242:243], v[156:157]// 000000008924: D3B0409C 1E73E5EC
	v_pk_fma_f32 v[158:159], v[238:239], v[242:243], v[158:159]// 00000000892C: D3B0409E 1E7BE5EE
	v_mfma_i32_16x16x32_i8 v[236:239], a[64:65], v[184:185], 0 // 000000008934: D3D700EC 0A037140
	buffer_load_dwordx4 a[152:155], v40, s[92:95], 0 offen offset:2048// 00000000893C: E05C1800 80979828
	v_mfma_i32_16x16x32_i8 v[236:239], a[66:67], v[186:187], v[236:239]// 000000008944: D3D700EC 0FB37542
	v_mfma_i32_16x16x32_i8 v[236:239], a[68:69], v[188:189], v[236:239]// 00000000894C: D3D700EC 0FB37944
	v_mfma_i32_16x16x32_i8 v[236:239], a[70:71], v[190:191], v[236:239]// 000000008954: D3D700EC 0FB37D46
	v_mfma_i32_16x16x32_i8 v[236:239], a[72:73], v[192:193], v[236:239]// 00000000895C: D3D700EC 0FB38148
	buffer_load_dwordx4 a[156:159], v40, s[92:95], 0 offen offset:3072// 000000008964: E05C1C00 80979C28
	v_mfma_i32_16x16x32_i8 v[236:239], a[74:75], v[194:195], v[236:239]// 00000000896C: D3D700EC 0FB3854A
	v_mfma_i32_16x16x32_i8 v[236:239], a[76:77], v[196:197], v[236:239]// 000000008974: D3D700EC 0FB3894C
	v_mfma_i32_16x16x32_i8 v[236:239], a[78:79], v[198:199], v[236:239]// 00000000897C: D3D700EC 0FB38D4E
	v_cvt_f32_i32_e32 v232, v232                               // 000000008984: 7FD00BE8
	v_cvt_f32_i32_e32 v233, v233                               // 000000008988: 7FD20BE9
	v_cvt_f32_i32_e32 v234, v234                               // 00000000898C: 7FD40BEA
	v_cvt_f32_i32_e32 v235, v235                               // 000000008990: 7FD60BEB
	v_pk_fma_f32 v[160:161], v[232:233], v[240:241], v[160:161]// 000000008994: D3B040A0 1E83E1E8
	v_pk_fma_f32 v[162:163], v[234:235], v[240:241], v[162:163]// 00000000899C: D3B040A2 1E8BE1EA
	v_cvt_f32_i32_e32 v236, v236                               // 0000000089A4: 7FD80BEC
	v_cvt_f32_i32_e32 v237, v237                               // 0000000089A8: 7FDA0BED
	v_cvt_f32_i32_e32 v238, v238                               // 0000000089AC: 7FDC0BEE
	v_cvt_f32_i32_e32 v239, v239                               // 0000000089B0: 7FDE0BEF
	v_pk_fma_f32 v[164:165], v[236:237], v[242:243], v[164:165]// 0000000089B4: D3B040A4 1E93E5EC
	v_pk_fma_f32 v[166:167], v[238:239], v[242:243], v[166:167]// 0000000089BC: D3B040A6 1E9BE5EE
	s_waitcnt vmcnt(12)                                        // 0000000089C4: BF8C0F7C
	s_barrier                                                  // 0000000089C8: BF8A0000
	v_mfma_i32_16x16x32_i8 v[232:235], a[80:81], v[168:169], 0 // 0000000089CC: D3D700E8 0A035150
	buffer_load_dwordx4 a[0:3], v36, s[24:27], 0 offen         // 0000000089D4: E05C1000 80860024
	v_mfma_i32_16x16x32_i8 v[232:235], a[82:83], v[170:171], v[232:235]// 0000000089DC: D3D700E8 0FA35552
	ds_read_b64 v[200:201], v2 offset:18688                    // 0000000089E4: D8EC4900 C8000002
	ds_read_b64 v[204:205], v2 offset:27008                    // 0000000089EC: D8EC6980 CC000002
	v_mfma_i32_16x16x32_i8 v[232:235], a[84:85], v[172:173], v[232:235]// 0000000089F4: D3D700E8 0FA35954
	v_mfma_i32_16x16x32_i8 v[232:235], a[86:87], v[174:175], v[232:235]// 0000000089FC: D3D700E8 0FA35D56
	ds_read_b64 v[208:209], v2 offset:18816                    // 000000008A04: D8EC4980 D0000002
	ds_read_b64 v[212:213], v2 offset:27136                    // 000000008A0C: D8EC6A00 D4000002
	v_mfma_i32_16x16x32_i8 v[232:235], a[88:89], v[176:177], v[232:235]// 000000008A14: D3D700E8 0FA36158
	buffer_load_dwordx4 a[4:7], v36, s[24:27], 0 offen offset:1024// 000000008A1C: E05C1400 80860424
	v_mfma_i32_16x16x32_i8 v[232:235], a[90:91], v[178:179], v[232:235]// 000000008A24: D3D700E8 0FA3655A
	ds_read_b64 v[216:217], v2 offset:18944                    // 000000008A2C: D8EC4A00 D8000002
	ds_read_b64 v[220:221], v2 offset:27264                    // 000000008A34: D8EC6A80 DC000002
	v_mfma_i32_16x16x32_i8 v[232:235], a[92:93], v[180:181], v[232:235]// 000000008A3C: D3D700E8 0FA3695C
	v_mfma_i32_16x16x32_i8 v[232:235], a[94:95], v[182:183], v[232:235]// 000000008A44: D3D700E8 0FA36D5E
	ds_read_b64 v[224:225], v2 offset:19072                    // 000000008A4C: D8EC4A80 E0000002
	ds_read_b64 v[228:229], v2 offset:27392                    // 000000008A54: D8EC6B00 E4000002
	s_waitcnt lgkmcnt(4)                                       // 000000008A5C: BF8CC47F
	v_and_b32_e32 v203, 0xffff0000, v201                       // 000000008A60: 279792FF FFFF0000
	v_lshlrev_b32_e32 v202, 16, v201                           // 000000008A68: 25959290
	v_and_b32_e32 v201, 0xffff0000, v200                       // 000000008A6C: 279390FF FFFF0000
	v_lshlrev_b32_e32 v200, 16, v200                           // 000000008A74: 25919090
	v_and_b32_e32 v207, 0xffff0000, v205                       // 000000008A78: 279F9AFF FFFF0000
	v_lshlrev_b32_e32 v206, 16, v205                           // 000000008A80: 259D9A90
	v_and_b32_e32 v205, 0xffff0000, v204                       // 000000008A84: 279B98FF FFFF0000
	v_lshlrev_b32_e32 v204, 16, v204                           // 000000008A8C: 25999890
	v_and_b32_e32 v211, 0xffff0000, v209                       // 000000008A90: 27A7A2FF FFFF0000
	v_lshlrev_b32_e32 v210, 16, v209                           // 000000008A98: 25A5A290
	v_and_b32_e32 v209, 0xffff0000, v208                       // 000000008A9C: 27A3A0FF FFFF0000
	v_lshlrev_b32_e32 v208, 16, v208                           // 000000008AA4: 25A1A090
	v_and_b32_e32 v215, 0xffff0000, v213                       // 000000008AA8: 27AFAAFF FFFF0000
	v_lshlrev_b32_e32 v214, 16, v213                           // 000000008AB0: 25ADAA90
	v_and_b32_e32 v213, 0xffff0000, v212                       // 000000008AB4: 27ABA8FF FFFF0000
	v_lshlrev_b32_e32 v212, 16, v212                           // 000000008ABC: 25A9A890
	v_mul_f32_dpp v200, v15, v200 row_newbcast:0 row_mask:0xf bank_mask:0xf// 000000008AC0: 0B9190FA FF01500F
	v_mul_f32_dpp v201, v15, v201 row_newbcast:1 row_mask:0xf bank_mask:0xf// 000000008AC8: 0B9392FA FF01510F
	v_mul_f32_dpp v202, v15, v202 row_newbcast:2 row_mask:0xf bank_mask:0xf// 000000008AD0: 0B9594FA FF01520F
	v_mul_f32_dpp v203, v15, v203 row_newbcast:3 row_mask:0xf bank_mask:0xf// 000000008AD8: 0B9796FA FF01530F
	v_mul_f32_dpp v204, v15, v204 row_newbcast:0 row_mask:0xf bank_mask:0xf// 000000008AE0: 0B9998FA FF01500F
	v_mul_f32_dpp v205, v15, v205 row_newbcast:1 row_mask:0xf bank_mask:0xf// 000000008AE8: 0B9B9AFA FF01510F
	v_mul_f32_dpp v206, v15, v206 row_newbcast:2 row_mask:0xf bank_mask:0xf// 000000008AF0: 0B9D9CFA FF01520F
	v_mul_f32_dpp v207, v15, v207 row_newbcast:3 row_mask:0xf bank_mask:0xf// 000000008AF8: 0B9F9EFA FF01530F
	v_mul_f32_dpp v208, v15, v208 row_newbcast:4 row_mask:0xf bank_mask:0xf// 000000008B00: 0BA1A0FA FF01540F
	v_mul_f32_dpp v209, v15, v209 row_newbcast:5 row_mask:0xf bank_mask:0xf// 000000008B08: 0BA3A2FA FF01550F
	v_mul_f32_dpp v210, v15, v210 row_newbcast:6 row_mask:0xf bank_mask:0xf// 000000008B10: 0BA5A4FA FF01560F
	v_mul_f32_dpp v211, v15, v211 row_newbcast:7 row_mask:0xf bank_mask:0xf// 000000008B18: 0BA7A6FA FF01570F
	v_mul_f32_dpp v212, v15, v212 row_newbcast:4 row_mask:0xf bank_mask:0xf// 000000008B20: 0BA9A8FA FF01540F
	v_mul_f32_dpp v213, v15, v213 row_newbcast:5 row_mask:0xf bank_mask:0xf// 000000008B28: 0BABAAFA FF01550F
	v_mul_f32_dpp v214, v15, v214 row_newbcast:6 row_mask:0xf bank_mask:0xf// 000000008B30: 0BADACFA FF01560F
	v_mul_f32_dpp v215, v15, v215 row_newbcast:7 row_mask:0xf bank_mask:0xf// 000000008B38: 0BAFAEFA FF01570F
	v_mfma_i32_16x16x32_i8 v[236:239], a[80:81], v[184:185], 0 // 000000008B40: D3D700EC 0A037150
	buffer_load_dwordx4 a[8:11], v36, s[24:27], 0 offen offset:2048// 000000008B48: E05C1800 80860824
	v_mfma_i32_16x16x32_i8 v[236:239], a[82:83], v[186:187], v[236:239]// 000000008B50: D3D700EC 0FB37552
	v_mfma_i32_16x16x32_i8 v[236:239], a[84:85], v[188:189], v[236:239]// 000000008B58: D3D700EC 0FB37954
	v_mfma_i32_16x16x32_i8 v[236:239], a[86:87], v[190:191], v[236:239]// 000000008B60: D3D700EC 0FB37D56
	v_mfma_i32_16x16x32_i8 v[236:239], a[88:89], v[192:193], v[236:239]// 000000008B68: D3D700EC 0FB38158
	buffer_load_dwordx4 a[12:15], v36, s[24:27], 0 offen offset:3072// 000000008B70: E05C1C00 80860C24
	v_mfma_i32_16x16x32_i8 v[236:239], a[90:91], v[194:195], v[236:239]// 000000008B78: D3D700EC 0FB3855A
	v_mfma_i32_16x16x32_i8 v[236:239], a[92:93], v[196:197], v[236:239]// 000000008B80: D3D700EC 0FB3895C
	v_mfma_i32_16x16x32_i8 v[236:239], a[94:95], v[198:199], v[236:239]// 000000008B88: D3D700EC 0FB38D5E
	s_waitcnt lgkmcnt(0)                                       // 000000008B90: BF8CC07F
	v_and_b32_e32 v219, 0xffff0000, v217                       // 000000008B94: 27B7B2FF FFFF0000
	v_lshlrev_b32_e32 v218, 16, v217                           // 000000008B9C: 25B5B290
	v_and_b32_e32 v217, 0xffff0000, v216                       // 000000008BA0: 27B3B0FF FFFF0000
	v_lshlrev_b32_e32 v216, 16, v216                           // 000000008BA8: 25B1B090
	v_and_b32_e32 v223, 0xffff0000, v221                       // 000000008BAC: 27BFBAFF FFFF0000
	v_lshlrev_b32_e32 v222, 16, v221                           // 000000008BB4: 25BDBA90
	v_and_b32_e32 v221, 0xffff0000, v220                       // 000000008BB8: 27BBB8FF FFFF0000
	v_lshlrev_b32_e32 v220, 16, v220                           // 000000008BC0: 25B9B890
	v_and_b32_e32 v227, 0xffff0000, v225                       // 000000008BC4: 27C7C2FF FFFF0000
	v_lshlrev_b32_e32 v226, 16, v225                           // 000000008BCC: 25C5C290
	v_and_b32_e32 v225, 0xffff0000, v224                       // 000000008BD0: 27C3C0FF FFFF0000
	v_lshlrev_b32_e32 v224, 16, v224                           // 000000008BD8: 25C1C090
	v_and_b32_e32 v231, 0xffff0000, v229                       // 000000008BDC: 27CFCAFF FFFF0000
	v_lshlrev_b32_e32 v230, 16, v229                           // 000000008BE4: 25CDCA90
	v_and_b32_e32 v229, 0xffff0000, v228                       // 000000008BE8: 27CBC8FF FFFF0000
	v_lshlrev_b32_e32 v228, 16, v228                           // 000000008BF0: 25C9C890
	v_mul_f32_dpp v216, v15, v216 row_newbcast:8 row_mask:0xf bank_mask:0xf// 000000008BF4: 0BB1B0FA FF01580F
	v_mul_f32_dpp v217, v15, v217 row_newbcast:9 row_mask:0xf bank_mask:0xf// 000000008BFC: 0BB3B2FA FF01590F
	v_mul_f32_dpp v218, v15, v218 row_newbcast:10 row_mask:0xf bank_mask:0xf// 000000008C04: 0BB5B4FA FF015A0F
	v_mul_f32_dpp v219, v15, v219 row_newbcast:11 row_mask:0xf bank_mask:0xf// 000000008C0C: 0BB7B6FA FF015B0F
	v_mul_f32_dpp v220, v15, v220 row_newbcast:8 row_mask:0xf bank_mask:0xf// 000000008C14: 0BB9B8FA FF01580F
	v_mul_f32_dpp v221, v15, v221 row_newbcast:9 row_mask:0xf bank_mask:0xf// 000000008C1C: 0BBBBAFA FF01590F
	v_mul_f32_dpp v222, v15, v222 row_newbcast:10 row_mask:0xf bank_mask:0xf// 000000008C24: 0BBDBCFA FF015A0F
	v_mul_f32_dpp v223, v15, v223 row_newbcast:11 row_mask:0xf bank_mask:0xf// 000000008C2C: 0BBFBEFA FF015B0F
	v_mul_f32_dpp v224, v15, v224 row_newbcast:12 row_mask:0xf bank_mask:0xf// 000000008C34: 0BC1C0FA FF015C0F
	v_mul_f32_dpp v225, v15, v225 row_newbcast:13 row_mask:0xf bank_mask:0xf// 000000008C3C: 0BC3C2FA FF015D0F
	v_mul_f32_dpp v226, v15, v226 row_newbcast:14 row_mask:0xf bank_mask:0xf// 000000008C44: 0BC5C4FA FF015E0F
	v_mul_f32_dpp v227, v15, v227 row_newbcast:15 row_mask:0xf bank_mask:0xf// 000000008C4C: 0BC7C6FA FF015F0F
	v_mul_f32_dpp v228, v15, v228 row_newbcast:12 row_mask:0xf bank_mask:0xf// 000000008C54: 0BC9C8FA FF015C0F
	v_mul_f32_dpp v229, v15, v229 row_newbcast:13 row_mask:0xf bank_mask:0xf// 000000008C5C: 0BCBCAFA FF015D0F
	v_mul_f32_dpp v230, v15, v230 row_newbcast:14 row_mask:0xf bank_mask:0xf// 000000008C64: 0BCDCCFA FF015E0F
	v_mul_f32_dpp v231, v15, v231 row_newbcast:15 row_mask:0xf bank_mask:0xf// 000000008C6C: 0BCFCEFA FF015F0F
	v_cvt_f32_i32_e32 v232, v232                               // 000000008C74: 7FD00BE8
	v_cvt_f32_i32_e32 v233, v233                               // 000000008C78: 7FD20BE9
	v_cvt_f32_i32_e32 v234, v234                               // 000000008C7C: 7FD40BEA
	v_cvt_f32_i32_e32 v235, v235                               // 000000008C80: 7FD60BEB
	v_pk_fma_f32 v[64:65], v[232:233], v[240:241], v[64:65]    // 000000008C84: D3B04040 1D03E1E8
	v_pk_fma_f32 v[66:67], v[234:235], v[240:241], v[66:67]    // 000000008C8C: D3B04042 1D0BE1EA
	v_mfma_i32_16x16x32_i8 v[232:235], a[96:97], v[168:169], 0 // 000000008C94: D3D700E8 0A035160
	buffer_load_dwordx4 a[16:19], v37, s[24:27], 0 offen       // 000000008C9C: E05C1000 80861025
	v_mfma_i32_16x16x32_i8 v[232:235], a[98:99], v[170:171], v[232:235]// 000000008CA4: D3D700E8 0FA35562
	v_mov_b32_e32 v46, 0x358637bd                              // 000000008CAC: 7E5C02FF 358637BD
	v_mov_b32_e32 v47, 0x358637bd                              // 000000008CB4: 7E5E02FF 358637BD
	v_max3_f32 v46, |v200|, |v201|, v46                        // 000000008CBC: D1D3032E 04BB93C8
	v_max3_f32 v46, |v202|, |v203|, v46                        // 000000008CC4: D1D3032E 04BB97CA
	v_max3_f32 v47, |v204|, |v205|, v47                        // 000000008CCC: D1D3032F 04BF9BCC
	v_max3_f32 v47, |v206|, |v207|, v47                        // 000000008CD4: D1D3032F 04BF9FCE
	v_max3_f32 v46, |v208|, |v209|, v46                        // 000000008CDC: D1D3032E 04BBA3D0
	v_max3_f32 v46, |v210|, |v211|, v46                        // 000000008CE4: D1D3032E 04BBA7D2
	v_max3_f32 v47, |v212|, |v213|, v47                        // 000000008CEC: D1D3032F 04BFABD4
	v_max3_f32 v47, |v214|, |v215|, v47                        // 000000008CF4: D1D3032F 04BFAFD6
	v_max3_f32 v46, |v216|, |v217|, v46                        // 000000008CFC: D1D3032E 04BBB3D8
	v_max3_f32 v46, |v218|, |v219|, v46                        // 000000008D04: D1D3032E 04BBB7DA
	v_max3_f32 v47, |v220|, |v221|, v47                        // 000000008D0C: D1D3032F 04BFBBDC
	v_max3_f32 v47, |v222|, |v223|, v47                        // 000000008D14: D1D3032F 04BFBFDE
	v_max3_f32 v46, |v224|, |v225|, v46                        // 000000008D1C: D1D3032E 04BBC3E0
	v_max3_f32 v46, |v226|, |v227|, v46                        // 000000008D24: D1D3032E 04BBC7E2
	v_max3_f32 v47, |v228|, |v229|, v47                        // 000000008D2C: D1D3032F 04BFCBE4
	v_max3_f32 v47, |v230|, |v231|, v47                        // 000000008D34: D1D3032F 04BFCFE6
	v_mfma_i32_16x16x32_i8 v[232:235], a[100:101], v[172:173], v[232:235]// 000000008D3C: D3D700E8 0FA35964
	v_mfma_i32_16x16x32_i8 v[232:235], a[102:103], v[174:175], v[232:235]// 000000008D44: D3D700E8 0FA35D66
	ds_write_b64 v3, v[46:47]                                  // 000000008D4C: D89A0000 00002E03
	v_mfma_i32_16x16x32_i8 v[232:235], a[104:105], v[176:177], v[232:235]// 000000008D54: D3D700E8 0FA36168
	buffer_load_dwordx4 a[20:23], v37, s[24:27], 0 offen offset:1024// 000000008D5C: E05C1400 80861425
	v_mfma_i32_16x16x32_i8 v[232:235], a[106:107], v[178:179], v[232:235]// 000000008D64: D3D700E8 0FA3656A
	s_waitcnt lgkmcnt(0)                                       // 000000008D6C: BF8CC07F
	s_barrier                                                  // 000000008D70: BF8A0000
	v_mfma_i32_16x16x32_i8 v[232:235], a[108:109], v[180:181], v[232:235]// 000000008D74: D3D700E8 0FA3696C
	v_mfma_i32_16x16x32_i8 v[232:235], a[110:111], v[182:183], v[232:235]// 000000008D7C: D3D700E8 0FA36D6E
	ds_read_b64 v[46:47], v4                                   // 000000008D84: D8EC0000 2E000004
	ds_read_b64 v[48:49], v4 offset:128                        // 000000008D8C: D8EC0080 30000004
	v_cvt_f32_i32_e32 v236, v236                               // 000000008D94: 7FD80BEC
	v_cvt_f32_i32_e32 v237, v237                               // 000000008D98: 7FDA0BED
	v_cvt_f32_i32_e32 v238, v238                               // 000000008D9C: 7FDC0BEE
	v_cvt_f32_i32_e32 v239, v239                               // 000000008DA0: 7FDE0BEF
	v_pk_fma_f32 v[68:69], v[236:237], v[242:243], v[68:69]    // 000000008DA4: D3B04044 1D13E5EC
	v_pk_fma_f32 v[70:71], v[238:239], v[242:243], v[70:71]    // 000000008DAC: D3B04046 1D1BE5EE
	v_mfma_i32_16x16x32_i8 v[236:239], a[96:97], v[184:185], 0 // 000000008DB4: D3D700EC 0A037160
	buffer_load_dwordx4 a[24:27], v37, s[24:27], 0 offen offset:2048// 000000008DBC: E05C1800 80861825
	v_mfma_i32_16x16x32_i8 v[236:239], a[98:99], v[186:187], v[236:239]// 000000008DC4: D3D700EC 0FB37562
	ds_read_b64 v[50:51], v4 offset:256                        // 000000008DCC: D8EC0100 32000004
	ds_read_b64 v[52:53], v4 offset:384                        // 000000008DD4: D8EC0180 34000004
	v_mfma_i32_16x16x32_i8 v[236:239], a[100:101], v[188:189], v[236:239]// 000000008DDC: D3D700EC 0FB37964
	v_mfma_i32_16x16x32_i8 v[236:239], a[102:103], v[190:191], v[236:239]// 000000008DE4: D3D700EC 0FB37D66
	ds_read_b64 v[54:55], v4 offset:512                        // 000000008DEC: D8EC0200 36000004
	ds_read_b64 v[56:57], v4 offset:640                        // 000000008DF4: D8EC0280 38000004
	v_mfma_i32_16x16x32_i8 v[236:239], a[104:105], v[192:193], v[236:239]// 000000008DFC: D3D700EC 0FB38168
	buffer_load_dwordx4 a[28:31], v37, s[24:27], 0 offen offset:3072// 000000008E04: E05C1C00 80861C25
	v_mfma_i32_16x16x32_i8 v[236:239], a[106:107], v[194:195], v[236:239]// 000000008E0C: D3D700EC 0FB3856A
	ds_read_b64 v[58:59], v4 offset:768                        // 000000008E14: D8EC0300 3A000004
	ds_read_b64 v[60:61], v4 offset:896                        // 000000008E1C: D8EC0380 3C000004
	v_mfma_i32_16x16x32_i8 v[236:239], a[108:109], v[196:197], v[236:239]// 000000008E24: D3D700EC 0FB3896C
	v_mfma_i32_16x16x32_i8 v[236:239], a[110:111], v[198:199], v[236:239]// 000000008E2C: D3D700EC 0FB38D6E
	v_cvt_f32_i32_e32 v232, v232                               // 000000008E34: 7FD00BE8
	v_cvt_f32_i32_e32 v233, v233                               // 000000008E38: 7FD20BE9
	v_cvt_f32_i32_e32 v234, v234                               // 000000008E3C: 7FD40BEA
	v_cvt_f32_i32_e32 v235, v235                               // 000000008E40: 7FD60BEB
	v_pk_fma_f32 v[72:73], v[232:233], v[240:241], v[72:73]    // 000000008E44: D3B04048 1D23E1E8
	v_pk_fma_f32 v[74:75], v[234:235], v[240:241], v[74:75]    // 000000008E4C: D3B0404A 1D2BE1EA
	s_waitcnt vmcnt(16)                                        // 000000008E54: BF8C4F70
	v_mfma_i32_16x16x32_i8 v[232:235], a[112:113], v[168:169], 0// 000000008E58: D3D700E8 0A035170
	buffer_load_dwordx4 a[32:35], v38, s[24:27], 0 offen       // 000000008E60: E05C1000 80862026
	v_mfma_i32_16x16x32_i8 v[232:235], a[114:115], v[170:171], v[232:235]// 000000008E68: D3D700E8 0FA35572
	s_waitcnt lgkmcnt(0)                                       // 000000008E70: BF8CC07F
	v_mov_b32_e32 v22, 0x358637bd                              // 000000008E74: 7E2C02FF 358637BD
	v_mov_b32_e32 v23, 0x358637bd                              // 000000008E7C: 7E2E02FF 358637BD
	v_max3_f32 v22, |v46|, |v48|, v22                          // 000000008E84: D1D30316 045A612E
	v_max3_f32 v23, |v47|, |v49|, v23                          // 000000008E8C: D1D30317 045E632F
	v_max3_f32 v22, |v50|, |v52|, v22                          // 000000008E94: D1D30316 045A6932
	v_max3_f32 v23, |v51|, |v53|, v23                          // 000000008E9C: D1D30317 045E6B33
	v_max3_f32 v22, |v54|, |v56|, v22                          // 000000008EA4: D1D30316 045A7136
	v_max3_f32 v23, |v55|, |v57|, v23                          // 000000008EAC: D1D30317 045E7337
	v_max3_f32 v22, |v58|, |v60|, v22                          // 000000008EB4: D1D30316 045A793A
	v_max3_f32 v23, |v59|, |v61|, v23                          // 000000008EBC: D1D30317 045E7B3B
	v_mfma_i32_16x16x32_i8 v[232:235], a[116:117], v[172:173], v[232:235]// 000000008EC4: D3D700E8 0FA35974
	v_mfma_i32_16x16x32_i8 v[232:235], a[118:119], v[174:175], v[232:235]// 000000008ECC: D3D700E8 0FA35D76
	ds_read_b64 v[46:47], v4 offset:1024                       // 000000008ED4: D8EC0400 2E000004
	ds_read_b64 v[48:49], v4 offset:1152                       // 000000008EDC: D8EC0480 30000004
	v_mfma_i32_16x16x32_i8 v[232:235], a[120:121], v[176:177], v[232:235]// 000000008EE4: D3D700E8 0FA36178
	buffer_load_dwordx4 a[36:39], v38, s[24:27], 0 offen offset:1024// 000000008EEC: E05C1400 80862426
	v_mfma_i32_16x16x32_i8 v[232:235], a[122:123], v[178:179], v[232:235]// 000000008EF4: D3D700E8 0FA3657A
	ds_read_b64 v[50:51], v4 offset:1280                       // 000000008EFC: D8EC0500 32000004
	ds_read_b64 v[52:53], v4 offset:1408                       // 000000008F04: D8EC0580 34000004
	v_mfma_i32_16x16x32_i8 v[232:235], a[124:125], v[180:181], v[232:235]// 000000008F0C: D3D700E8 0FA3697C
	v_mfma_i32_16x16x32_i8 v[232:235], a[126:127], v[182:183], v[232:235]// 000000008F14: D3D700E8 0FA36D7E
	ds_read_b64 v[54:55], v4 offset:1536                       // 000000008F1C: D8EC0600 36000004
	ds_read_b64 v[56:57], v4 offset:1664                       // 000000008F24: D8EC0680 38000004
	v_cvt_f32_i32_e32 v236, v236                               // 000000008F2C: 7FD80BEC
	v_cvt_f32_i32_e32 v237, v237                               // 000000008F30: 7FDA0BED
	v_cvt_f32_i32_e32 v238, v238                               // 000000008F34: 7FDC0BEE
	v_cvt_f32_i32_e32 v239, v239                               // 000000008F38: 7FDE0BEF
	v_pk_fma_f32 v[76:77], v[236:237], v[242:243], v[76:77]    // 000000008F3C: D3B0404C 1D33E5EC
	v_pk_fma_f32 v[78:79], v[238:239], v[242:243], v[78:79]    // 000000008F44: D3B0404E 1D3BE5EE
	v_mfma_i32_16x16x32_i8 v[236:239], a[112:113], v[184:185], 0// 000000008F4C: D3D700EC 0A037170
	buffer_load_dwordx4 a[40:43], v38, s[24:27], 0 offen offset:2048// 000000008F54: E05C1800 80862826
	v_mfma_i32_16x16x32_i8 v[236:239], a[114:115], v[186:187], v[236:239]// 000000008F5C: D3D700EC 0FB37572
	ds_read_b64 v[58:59], v4 offset:1792                       // 000000008F64: D8EC0700 3A000004
	ds_read_b64 v[60:61], v4 offset:1920                       // 000000008F6C: D8EC0780 3C000004
	v_mfma_i32_16x16x32_i8 v[236:239], a[116:117], v[188:189], v[236:239]// 000000008F74: D3D700EC 0FB37974
	v_mfma_i32_16x16x32_i8 v[236:239], a[118:119], v[190:191], v[236:239]// 000000008F7C: D3D700EC 0FB37D76
	v_mfma_i32_16x16x32_i8 v[236:239], a[120:121], v[192:193], v[236:239]// 000000008F84: D3D700EC 0FB38178
	buffer_load_dwordx4 a[44:47], v38, s[24:27], 0 offen offset:3072// 000000008F8C: E05C1C00 80862C26
	v_mfma_i32_16x16x32_i8 v[236:239], a[122:123], v[194:195], v[236:239]// 000000008F94: D3D700EC 0FB3857A
	s_waitcnt lgkmcnt(0)                                       // 000000008F9C: BF8CC07F
	v_max3_f32 v22, |v46|, |v48|, v22                          // 000000008FA0: D1D30316 045A612E
	v_max3_f32 v23, |v47|, |v49|, v23                          // 000000008FA8: D1D30317 045E632F
	v_max3_f32 v22, |v50|, |v52|, v22                          // 000000008FB0: D1D30316 045A6932
	v_max3_f32 v23, |v51|, |v53|, v23                          // 000000008FB8: D1D30317 045E6B33
	v_max3_f32 v22, |v54|, |v56|, v22                          // 000000008FC0: D1D30316 045A7136
	v_max3_f32 v23, |v55|, |v57|, v23                          // 000000008FC8: D1D30317 045E7337
	v_max3_f32 v22, |v58|, |v60|, v22                          // 000000008FD0: D1D30316 045A793A
	v_max3_f32 v23, |v59|, |v61|, v23                          // 000000008FD8: D1D30317 045E7B3B
	v_mov_b32_e32 v42, 0x42fe0000                              // 000000008FE0: 7E5402FF 42FE0000
	v_rcp_f32_e32 v22, v22                                     // 000000008FE8: 7E2C4516
	v_rcp_f32_e32 v23, v23                                     // 000000008FEC: 7E2E4517
	s_nop 1                                                    // 000000008FF0: BF800001
	v_mul_f32_e32 v22, v42, v22                                // 000000008FF4: 0A2C2D2A
	v_mul_f32_e32 v23, v42, v23                                // 000000008FF8: 0A2E2F2A
	v_rcp_f32_e32 v26, v22                                     // 000000008FFC: 7E344516
	v_rcp_f32_e32 v27, v23                                     // 000000009000: 7E364517
	v_mov_b32_e32 v42, v22                                     // 000000009004: 7E540316
	v_mov_b32_e32 v43, v22                                     // 000000009008: 7E560316
	v_mov_b32_e32 v44, v23                                     // 00000000900C: 7E580317
	v_mov_b32_e32 v45, v23                                     // 000000009010: 7E5A0317
	v_pk_mul_f32 v[200:201], v[42:43], v[200:201]              // 000000009014: D3B140C8 1803912A
	v_pk_mul_f32 v[202:203], v[42:43], v[202:203]              // 00000000901C: D3B140CA 1803952A
	v_cvt_i32_f32_e32 v200, v200                               // 000000009024: 7F9011C8
	v_cvt_i32_f32_e32 v201, v201                               // 000000009028: 7F9211C9
	v_cvt_i32_f32_e32 v202, v202                               // 00000000902C: 7F9411CA
	v_cvt_i32_f32_e32 v203, v203                               // 000000009030: 7F9611CB
	v_perm_b32 v200, v201, v200, s53                           // 000000009034: D1ED00C8 00D791C9
	v_perm_b32 v200, v202, v200, s54                           // 00000000903C: D1ED00C8 00DB91CA
	v_perm_b32 v200, v203, v200, s55                           // 000000009044: D1ED00C8 00DF91CB
	v_pk_mul_f32 v[204:205], v[44:45], v[204:205]              // 00000000904C: D3B140CC 1803992C
	v_pk_mul_f32 v[206:207], v[44:45], v[206:207]              // 000000009054: D3B140CE 18039D2C
	v_cvt_i32_f32_e32 v204, v204                               // 00000000905C: 7F9811CC
	v_cvt_i32_f32_e32 v205, v205                               // 000000009060: 7F9A11CD
	v_cvt_i32_f32_e32 v206, v206                               // 000000009064: 7F9C11CE
	v_cvt_i32_f32_e32 v207, v207                               // 000000009068: 7F9E11CF
	v_perm_b32 v201, v205, v204, s53                           // 00000000906C: D1ED00C9 00D799CD
	v_perm_b32 v201, v206, v201, s54                           // 000000009074: D1ED00C9 00DB93CE
	v_perm_b32 v201, v207, v201, s55                           // 00000000907C: D1ED00C9 00DF93CF
	v_pk_mul_f32 v[208:209], v[42:43], v[208:209]              // 000000009084: D3B140D0 1803A12A
	v_pk_mul_f32 v[210:211], v[42:43], v[210:211]              // 00000000908C: D3B140D2 1803A52A
	v_cvt_i32_f32_e32 v208, v208                               // 000000009094: 7FA011D0
	v_cvt_i32_f32_e32 v209, v209                               // 000000009098: 7FA211D1
	v_cvt_i32_f32_e32 v210, v210                               // 00000000909C: 7FA411D2
	v_cvt_i32_f32_e32 v211, v211                               // 0000000090A0: 7FA611D3
	v_perm_b32 v202, v209, v208, s53                           // 0000000090A4: D1ED00CA 00D7A1D1
	v_perm_b32 v202, v210, v202, s54                           // 0000000090AC: D1ED00CA 00DB95D2
	v_perm_b32 v202, v211, v202, s55                           // 0000000090B4: D1ED00CA 00DF95D3
	v_pk_mul_f32 v[212:213], v[44:45], v[212:213]              // 0000000090BC: D3B140D4 1803A92C
	v_pk_mul_f32 v[214:215], v[44:45], v[214:215]              // 0000000090C4: D3B140D6 1803AD2C
	v_cvt_i32_f32_e32 v212, v212                               // 0000000090CC: 7FA811D4
	v_cvt_i32_f32_e32 v213, v213                               // 0000000090D0: 7FAA11D5
	v_cvt_i32_f32_e32 v214, v214                               // 0000000090D4: 7FAC11D6
	v_cvt_i32_f32_e32 v215, v215                               // 0000000090D8: 7FAE11D7
	v_perm_b32 v203, v213, v212, s53                           // 0000000090DC: D1ED00CB 00D7A9D5
	v_perm_b32 v203, v214, v203, s54                           // 0000000090E4: D1ED00CB 00DB97D6
	v_perm_b32 v203, v215, v203, s55                           // 0000000090EC: D1ED00CB 00DF97D7
	v_pk_mul_f32 v[216:217], v[42:43], v[216:217]              // 0000000090F4: D3B140D8 1803B12A
	v_pk_mul_f32 v[218:219], v[42:43], v[218:219]              // 0000000090FC: D3B140DA 1803B52A
	v_cvt_i32_f32_e32 v216, v216                               // 000000009104: 7FB011D8
	v_cvt_i32_f32_e32 v217, v217                               // 000000009108: 7FB211D9
	v_cvt_i32_f32_e32 v218, v218                               // 00000000910C: 7FB411DA
	v_cvt_i32_f32_e32 v219, v219                               // 000000009110: 7FB611DB
	v_perm_b32 v204, v217, v216, s53                           // 000000009114: D1ED00CC 00D7B1D9
	v_perm_b32 v204, v218, v204, s54                           // 00000000911C: D1ED00CC 00DB99DA
	v_perm_b32 v204, v219, v204, s55                           // 000000009124: D1ED00CC 00DF99DB
	v_pk_mul_f32 v[220:221], v[44:45], v[220:221]              // 00000000912C: D3B140DC 1803B92C
	v_pk_mul_f32 v[222:223], v[44:45], v[222:223]              // 000000009134: D3B140DE 1803BD2C
	v_cvt_i32_f32_e32 v220, v220                               // 00000000913C: 7FB811DC
	v_cvt_i32_f32_e32 v221, v221                               // 000000009140: 7FBA11DD
	v_cvt_i32_f32_e32 v222, v222                               // 000000009144: 7FBC11DE
	v_cvt_i32_f32_e32 v223, v223                               // 000000009148: 7FBE11DF
	v_perm_b32 v205, v221, v220, s53                           // 00000000914C: D1ED00CD 00D7B9DD
	v_perm_b32 v205, v222, v205, s54                           // 000000009154: D1ED00CD 00DB9BDE
	v_perm_b32 v205, v223, v205, s55                           // 00000000915C: D1ED00CD 00DF9BDF
	v_pk_mul_f32 v[224:225], v[42:43], v[224:225]              // 000000009164: D3B140E0 1803C12A
	v_pk_mul_f32 v[226:227], v[42:43], v[226:227]              // 00000000916C: D3B140E2 1803C52A
	v_cvt_i32_f32_e32 v224, v224                               // 000000009174: 7FC011E0
	v_cvt_i32_f32_e32 v225, v225                               // 000000009178: 7FC211E1
	v_cvt_i32_f32_e32 v226, v226                               // 00000000917C: 7FC411E2
	v_cvt_i32_f32_e32 v227, v227                               // 000000009180: 7FC611E3
	v_perm_b32 v206, v225, v224, s53                           // 000000009184: D1ED00CE 00D7C1E1
	v_perm_b32 v206, v226, v206, s54                           // 00000000918C: D1ED00CE 00DB9DE2
	v_perm_b32 v206, v227, v206, s55                           // 000000009194: D1ED00CE 00DF9DE3
	v_pk_mul_f32 v[228:229], v[44:45], v[228:229]              // 00000000919C: D3B140E4 1803C92C
	v_pk_mul_f32 v[230:231], v[44:45], v[230:231]              // 0000000091A4: D3B140E6 1803CD2C
	v_cvt_i32_f32_e32 v228, v228                               // 0000000091AC: 7FC811E4
	v_cvt_i32_f32_e32 v229, v229                               // 0000000091B0: 7FCA11E5
	v_cvt_i32_f32_e32 v230, v230                               // 0000000091B4: 7FCC11E6
	v_cvt_i32_f32_e32 v231, v231                               // 0000000091B8: 7FCE11E7
	v_perm_b32 v207, v229, v228, s53                           // 0000000091BC: D1ED00CF 00D7C9E5
	v_perm_b32 v207, v230, v207, s54                           // 0000000091C4: D1ED00CF 00DB9FE6
	v_perm_b32 v207, v231, v207, s55                           // 0000000091CC: D1ED00CF 00DF9FE7
	v_mfma_i32_16x16x32_i8 v[236:239], a[124:125], v[196:197], v[236:239]// 0000000091D4: D3D700EC 0FB3897C
	v_mfma_i32_16x16x32_i8 v[236:239], a[126:127], v[198:199], v[236:239]// 0000000091DC: D3D700EC 0FB38D7E
	ds_write_b32 v12, v200 offset:2048                         // 0000000091E4: D81A0800 0000C80C
	ds_write_b32 v12, v201 offset:6144                         // 0000000091EC: D81A1800 0000C90C
	v_cvt_f32_i32_e32 v232, v232                               // 0000000091F4: 7FD00BE8
	v_cvt_f32_i32_e32 v233, v233                               // 0000000091F8: 7FD20BE9
	v_cvt_f32_i32_e32 v234, v234                               // 0000000091FC: 7FD40BEA
	v_cvt_f32_i32_e32 v235, v235                               // 000000009200: 7FD60BEB
	v_pk_fma_f32 v[80:81], v[232:233], v[240:241], v[80:81]    // 000000009204: D3B04050 1D43E1E8
	v_pk_fma_f32 v[82:83], v[234:235], v[240:241], v[82:83]    // 00000000920C: D3B04052 1D4BE1EA
	s_waitcnt vmcnt(16)                                        // 000000009214: BF8C4F70
	v_mfma_i32_16x16x32_i8 v[232:235], a[128:129], v[168:169], 0// 000000009218: D3D700E8 0A035180
	buffer_load_dwordx4 a[48:51], v39, s[24:27], 0 offen       // 000000009220: E05C1000 80863027
	v_mfma_i32_16x16x32_i8 v[232:235], a[130:131], v[170:171], v[232:235]// 000000009228: D3D700E8 0FA35582
	ds_write_b32 v12, v202 offset:3072                         // 000000009230: D81A0C00 0000CA0C
	ds_write_b32 v12, v203 offset:7168                         // 000000009238: D81A1C00 0000CB0C
	v_mfma_i32_16x16x32_i8 v[232:235], a[132:133], v[172:173], v[232:235]// 000000009240: D3D700E8 0FA35984
	v_mfma_i32_16x16x32_i8 v[232:235], a[134:135], v[174:175], v[232:235]// 000000009248: D3D700E8 0FA35D86
	ds_write_b32 v12, v204 offset:4096                         // 000000009250: D81A1000 0000CC0C
	ds_write_b32 v12, v205 offset:8192                         // 000000009258: D81A2000 0000CD0C
	v_mfma_i32_16x16x32_i8 v[232:235], a[136:137], v[176:177], v[232:235]// 000000009260: D3D700E8 0FA36188
	buffer_load_dwordx4 a[52:55], v39, s[24:27], 0 offen offset:1024// 000000009268: E05C1400 80863427
	v_mfma_i32_16x16x32_i8 v[232:235], a[138:139], v[178:179], v[232:235]// 000000009270: D3D700E8 0FA3658A
	ds_write_b32 v12, v206 offset:5120                         // 000000009278: D81A1400 0000CE0C
	ds_write_b32 v12, v207 offset:9216                         // 000000009280: D81A2400 0000CF0C
	v_mfma_i32_16x16x32_i8 v[232:235], a[140:141], v[180:181], v[232:235]// 000000009288: D3D700E8 0FA3698C
	v_mfma_i32_16x16x32_i8 v[232:235], a[142:143], v[182:183], v[232:235]// 000000009290: D3D700E8 0FA36D8E
	v_cvt_f32_i32_e32 v236, v236                               // 000000009298: 7FD80BEC
	v_cvt_f32_i32_e32 v237, v237                               // 00000000929C: 7FDA0BED
	v_cvt_f32_i32_e32 v238, v238                               // 0000000092A0: 7FDC0BEE
	v_cvt_f32_i32_e32 v239, v239                               // 0000000092A4: 7FDE0BEF
	v_pk_fma_f32 v[84:85], v[236:237], v[242:243], v[84:85]    // 0000000092A8: D3B04054 1D53E5EC
	v_pk_fma_f32 v[86:87], v[238:239], v[242:243], v[86:87]    // 0000000092B0: D3B04056 1D5BE5EE
	v_mfma_i32_16x16x32_i8 v[236:239], a[128:129], v[184:185], 0// 0000000092B8: D3D700EC 0A037180
	buffer_load_dwordx4 a[56:59], v39, s[24:27], 0 offen offset:2048// 0000000092C0: E05C1800 80863827
	v_mfma_i32_16x16x32_i8 v[236:239], a[130:131], v[186:187], v[236:239]// 0000000092C8: D3D700EC 0FB37582
	v_mfma_i32_16x16x32_i8 v[236:239], a[132:133], v[188:189], v[236:239]// 0000000092D0: D3D700EC 0FB37984
	v_mfma_i32_16x16x32_i8 v[236:239], a[134:135], v[190:191], v[236:239]// 0000000092D8: D3D700EC 0FB37D86
	s_waitcnt lgkmcnt(0)                                       // 0000000092E0: BF8CC07F
	s_barrier                                                  // 0000000092E4: BF8A0000
	v_mfma_i32_16x16x32_i8 v[236:239], a[136:137], v[192:193], v[236:239]// 0000000092E8: D3D700EC 0FB38188
	buffer_load_dwordx4 a[60:63], v39, s[24:27], 0 offen offset:3072// 0000000092F0: E05C1C00 80863C27
	v_mfma_i32_16x16x32_i8 v[236:239], a[138:139], v[194:195], v[236:239]// 0000000092F8: D3D700EC 0FB3858A
	ds_read_b64 v[200:201], v13 offset:2048                    // 000000009300: D8EC0800 C800000D
	ds_read_b64 v[202:203], v13 offset:2176                    // 000000009308: D8EC0880 CA00000D
	v_mfma_i32_16x16x32_i8 v[236:239], a[140:141], v[196:197], v[236:239]// 000000009310: D3D700EC 0FB3898C
	v_mfma_i32_16x16x32_i8 v[236:239], a[142:143], v[198:199], v[236:239]// 000000009318: D3D700EC 0FB38D8E
	ds_read_b64 v[204:205], v13 offset:3072                    // 000000009320: D8EC0C00 CC00000D
	ds_read_b64 v[206:207], v13 offset:3200                    // 000000009328: D8EC0C80 CE00000D
	v_cvt_f32_i32_e32 v232, v232                               // 000000009330: 7FD00BE8
	v_cvt_f32_i32_e32 v233, v233                               // 000000009334: 7FD20BE9
	v_cvt_f32_i32_e32 v234, v234                               // 000000009338: 7FD40BEA
	v_cvt_f32_i32_e32 v235, v235                               // 00000000933C: 7FD60BEB
	v_pk_fma_f32 v[88:89], v[232:233], v[240:241], v[88:89]    // 000000009340: D3B04058 1D63E1E8
	v_pk_fma_f32 v[90:91], v[234:235], v[240:241], v[90:91]    // 000000009348: D3B0405A 1D6BE1EA
	s_waitcnt vmcnt(16)                                        // 000000009350: BF8C4F70
	v_mfma_i32_16x16x32_i8 v[232:235], a[144:145], v[168:169], 0// 000000009354: D3D700E8 0A035190
	buffer_load_dwordx4 a[64:67], v40, s[24:27], 0 offen       // 00000000935C: E05C1000 80864028
	v_mfma_i32_16x16x32_i8 v[232:235], a[146:147], v[170:171], v[232:235]// 000000009364: D3D700E8 0FA35592
	ds_read_b64 v[208:209], v13 offset:4096                    // 00000000936C: D8EC1000 D000000D
	ds_read_b64 v[210:211], v13 offset:4224                    // 000000009374: D8EC1080 D200000D
	v_mfma_i32_16x16x32_i8 v[232:235], a[148:149], v[172:173], v[232:235]// 00000000937C: D3D700E8 0FA35994
	v_mfma_i32_16x16x32_i8 v[232:235], a[150:151], v[174:175], v[232:235]// 000000009384: D3D700E8 0FA35D96
	ds_read_b64 v[212:213], v13 offset:5120                    // 00000000938C: D8EC1400 D400000D
	ds_read_b64 v[214:215], v13 offset:5248                    // 000000009394: D8EC1480 D600000D
	v_mfma_i32_16x16x32_i8 v[232:235], a[152:153], v[176:177], v[232:235]// 00000000939C: D3D700E8 0FA36198
	buffer_load_dwordx4 a[68:71], v40, s[24:27], 0 offen offset:1024// 0000000093A4: E05C1400 80864428
	v_mfma_i32_16x16x32_i8 v[232:235], a[154:155], v[178:179], v[232:235]// 0000000093AC: D3D700E8 0FA3659A
	ds_read_b64 v[216:217], v13 offset:6144                    // 0000000093B4: D8EC1800 D800000D
	ds_read_b64 v[218:219], v13 offset:6272                    // 0000000093BC: D8EC1880 DA00000D
	v_mfma_i32_16x16x32_i8 v[232:235], a[156:157], v[180:181], v[232:235]// 0000000093C4: D3D700E8 0FA3699C
	v_mfma_i32_16x16x32_i8 v[232:235], a[158:159], v[182:183], v[232:235]// 0000000093CC: D3D700E8 0FA36D9E
	ds_read_b64 v[220:221], v13 offset:7168                    // 0000000093D4: D8EC1C00 DC00000D
	ds_read_b64 v[222:223], v13 offset:7296                    // 0000000093DC: D8EC1C80 DE00000D
	v_cvt_f32_i32_e32 v236, v236                               // 0000000093E4: 7FD80BEC
	v_cvt_f32_i32_e32 v237, v237                               // 0000000093E8: 7FDA0BED
	v_cvt_f32_i32_e32 v238, v238                               // 0000000093EC: 7FDC0BEE
	v_cvt_f32_i32_e32 v239, v239                               // 0000000093F0: 7FDE0BEF
	v_pk_fma_f32 v[92:93], v[236:237], v[242:243], v[92:93]    // 0000000093F4: D3B0405C 1D73E5EC
	v_pk_fma_f32 v[94:95], v[238:239], v[242:243], v[94:95]    // 0000000093FC: D3B0405E 1D7BE5EE
	v_mfma_i32_16x16x32_i8 v[236:239], a[144:145], v[184:185], 0// 000000009404: D3D700EC 0A037190
	buffer_load_dwordx4 a[72:75], v40, s[24:27], 0 offen offset:2048// 00000000940C: E05C1800 80864828
	v_mfma_i32_16x16x32_i8 v[236:239], a[146:147], v[186:187], v[236:239]// 000000009414: D3D700EC 0FB37592
	ds_read_b64 v[224:225], v13 offset:8192                    // 00000000941C: D8EC2000 E000000D
	ds_read_b64 v[226:227], v13 offset:8320                    // 000000009424: D8EC2080 E200000D
	v_mfma_i32_16x16x32_i8 v[236:239], a[148:149], v[188:189], v[236:239]// 00000000942C: D3D700EC 0FB37994
	v_mfma_i32_16x16x32_i8 v[236:239], a[150:151], v[190:191], v[236:239]// 000000009434: D3D700EC 0FB37D96
	ds_read_b64 v[228:229], v13 offset:9216                    // 00000000943C: D8EC2400 E400000D
	ds_read_b64 v[230:231], v13 offset:9344                    // 000000009444: D8EC2480 E600000D
	v_mfma_i32_16x16x32_i8 v[236:239], a[152:153], v[192:193], v[236:239]// 00000000944C: D3D700EC 0FB38198
	buffer_load_dwordx4 a[76:79], v40, s[24:27], 0 offen offset:3072// 000000009454: E05C1C00 80864C28
	v_mfma_i32_16x16x32_i8 v[236:239], a[154:155], v[194:195], v[236:239]// 00000000945C: D3D700EC 0FB3859A
	v_mfma_i32_16x16x32_i8 v[236:239], a[156:157], v[196:197], v[236:239]// 000000009464: D3D700EC 0FB3899C
	v_mfma_i32_16x16x32_i8 v[236:239], a[158:159], v[198:199], v[236:239]// 00000000946C: D3D700EC 0FB38D9E
	v_cvt_f32_i32_e32 v232, v232                               // 000000009474: 7FD00BE8
	v_cvt_f32_i32_e32 v233, v233                               // 000000009478: 7FD20BE9
	v_cvt_f32_i32_e32 v234, v234                               // 00000000947C: 7FD40BEA
	v_cvt_f32_i32_e32 v235, v235                               // 000000009480: 7FD60BEB
	v_pk_fma_f32 v[96:97], v[232:233], v[240:241], v[96:97]    // 000000009484: D3B04060 1D83E1E8
	v_pk_fma_f32 v[98:99], v[234:235], v[240:241], v[98:99]    // 00000000948C: D3B04062 1D8BE1EA
	v_cvt_f32_i32_e32 v236, v236                               // 000000009494: 7FD80BEC
	v_cvt_f32_i32_e32 v237, v237                               // 000000009498: 7FDA0BED
	v_cvt_f32_i32_e32 v238, v238                               // 00000000949C: 7FDC0BEE
	v_cvt_f32_i32_e32 v239, v239                               // 0000000094A0: 7FDE0BEF
	v_pk_fma_f32 v[100:101], v[236:237], v[242:243], v[100:101]// 0000000094A4: D3B04064 1D93E5EC
	v_pk_fma_f32 v[102:103], v[238:239], v[242:243], v[102:103]// 0000000094AC: D3B04066 1D9BE5EE
	s_add_u32 s60, 0x200, s80                                  // 0000000094B4: 803C50FF 00000200
	s_cmp_lt_u32 s60, s81                                      // 0000000094BC: BF0A513C
	s_cselect_b32 s57, s57, 0                                  // 0000000094C0: 85398039
	s_cselect_b32 s91, s91, 0                                  // 0000000094C4: 855B805B
	s_add_u32 s60, 0x200, s80                                  // 0000000094C8: 803C50FF 00000200
	s_cmp_lt_u32 s60, s81                                      // 0000000094D0: BF0A513C
	s_cselect_b32 s58, s58, 0                                  // 0000000094D4: 853A803A
	s_add_u32 s20, s57, s20                                    // 0000000094D8: 80141439
	s_addc_u32 s21, 0, s21                                     // 0000000094DC: 82151580
	s_add_u32 s28, s91, s28                                    // 0000000094E0: 801C1C5B
	s_addc_u32 s29, 0, s29                                     // 0000000094E4: 821D1D80
	s_add_u32 s24, s58, s24                                    // 0000000094E8: 8018183A
	s_addc_u32 s25, 0, s25                                     // 0000000094EC: 82191980
	s_add_u32 s92, s90, s92                                    // 0000000094F0: 805C5C5A
	s_addc_u32 s93, 0, s93                                     // 0000000094F4: 825D5D80
	s_addk_i32 s80, 0x100                                      // 0000000094F8: B7500100
	s_cmp_lt_i32 s80, s81                                      // 0000000094FC: BF045150
	s_cbranch_scc0 label_1EA4                                  // 000000009500: BF840423
	v_mov_b32_e32 v240, v26                                    // 000000009504: 7FE0031A
	v_mov_b32_e32 v242, v27                                    // 000000009508: 7FE4031B
	v_mov_b32_e32 v241, v240                                   // 00000000950C: 7FE203F0
	v_mov_b32_e32 v243, v242                                   // 000000009510: 7FE603F2
	s_waitcnt vmcnt(12) lgkmcnt(0)                             // 000000009514: BF8C007C
	s_barrier                                                  // 000000009518: BF8A0000
	v_mfma_i32_16x16x32_i8 v[232:235], a[0:1], v[200:201], 0   // 00000000951C: D3D700E8 0A039100
	buffer_load_dwordx4 a[80:83], v36, s[92:95], 0 offen       // 000000009524: E05C1000 80975024
	v_mfma_i32_16x16x32_i8 v[232:235], a[2:3], v[202:203], v[232:235]// 00000000952C: D3D700E8 0FA39502
	v_mfma_i32_16x16x32_i8 v[232:235], a[4:5], v[204:205], v[232:235]// 000000009534: D3D700E8 0FA39904
	buffer_load_dword v28, s[20:23], 0 offen lds               // 00000000953C: E0511000 8005001C
	buffer_load_dword v28, s[20:23], 0 offen offset:256 lds    // 000000009544: E0511100 8005001C
	s_add_u32 m0, 0x820, s50                                   // 00000000954C: 807C32FF 00000820
	v_mfma_i32_16x16x32_i8 v[232:235], a[6:7], v[206:207], v[232:235]// 000000009554: D3D700E8 0FA39D06
	v_mfma_i32_16x16x32_i8 v[232:235], a[8:9], v[208:209], v[232:235]// 00000000955C: D3D700E8 0FA3A108
	buffer_load_dwordx4 a[84:87], v36, s[92:95], 0 offen offset:1024// 000000009564: E05C1400 80975424
	v_mfma_i32_16x16x32_i8 v[232:235], a[10:11], v[210:211], v[232:235]// 00000000956C: D3D700E8 0FA3A50A
	v_mfma_i32_16x16x32_i8 v[232:235], a[12:13], v[212:213], v[232:235]// 000000009574: D3D700E8 0FA3A90C
	buffer_load_dword v29, s[20:23], 0 offen lds               // 00000000957C: E0511000 8005001D
	buffer_load_dword v29, s[20:23], 0 offen offset:256 lds    // 000000009584: E0511100 8005001D
	s_add_u32 m0, 0x1040, s50                                  // 00000000958C: 807C32FF 00001040
	v_mfma_i32_16x16x32_i8 v[232:235], a[14:15], v[214:215], v[232:235]// 000000009594: D3D700E8 0FA3AD0E
	v_mfma_i32_16x16x32_i8 v[236:239], a[0:1], v[216:217], 0   // 00000000959C: D3D700EC 0A03B100
	buffer_load_dwordx4 a[88:91], v36, s[92:95], 0 offen offset:2048// 0000000095A4: E05C1800 80975824
	v_mfma_i32_16x16x32_i8 v[236:239], a[2:3], v[218:219], v[236:239]// 0000000095AC: D3D700EC 0FB3B502
	v_mfma_i32_16x16x32_i8 v[236:239], a[4:5], v[220:221], v[236:239]// 0000000095B4: D3D700EC 0FB3B904
	buffer_load_dword v30, s[20:23], 0 offen lds               // 0000000095BC: E0511000 8005001E
	buffer_load_dword v30, s[20:23], 0 offen offset:256 lds    // 0000000095C4: E0511100 8005001E
	s_add_u32 m0, 0x1860, s50                                  // 0000000095CC: 807C32FF 00001860
	v_mfma_i32_16x16x32_i8 v[236:239], a[6:7], v[222:223], v[236:239]// 0000000095D4: D3D700EC 0FB3BD06
	v_mfma_i32_16x16x32_i8 v[236:239], a[8:9], v[224:225], v[236:239]// 0000000095DC: D3D700EC 0FB3C108
	buffer_load_dwordx4 a[92:95], v36, s[92:95], 0 offen offset:3072// 0000000095E4: E05C1C00 80975C24
	v_mfma_i32_16x16x32_i8 v[236:239], a[10:11], v[226:227], v[236:239]// 0000000095EC: D3D700EC 0FB3C50A
	v_mfma_i32_16x16x32_i8 v[236:239], a[12:13], v[228:229], v[236:239]// 0000000095F4: D3D700EC 0FB3C90C
	buffer_load_dword v31, s[20:23], 0 offen lds               // 0000000095FC: E0511000 8005001F
	buffer_load_dword v31, s[20:23], 0 offen offset:256 lds    // 000000009604: E0511100 8005001F
	s_add_u32 m0, 0x2080, s50                                  // 00000000960C: 807C32FF 00002080
	v_mfma_i32_16x16x32_i8 v[236:239], a[14:15], v[230:231], v[236:239]// 000000009614: D3D700EC 0FB3CD0E
	v_cvt_f32_i32_e32 v232, v232                               // 00000000961C: 7FD00BE8
	v_cvt_f32_i32_e32 v233, v233                               // 000000009620: 7FD20BE9
	v_cvt_f32_i32_e32 v234, v234                               // 000000009624: 7FD40BEA
	v_cvt_f32_i32_e32 v235, v235                               // 000000009628: 7FD60BEB
	v_pk_fma_f32 v[128:129], v[232:233], v[240:241], v[128:129]// 00000000962C: D3B04080 1E03E1E8
	v_pk_fma_f32 v[130:131], v[234:235], v[240:241], v[130:131]// 000000009634: D3B04082 1E0BE1EA
	v_mfma_i32_16x16x32_i8 v[232:235], a[16:17], v[200:201], 0 // 00000000963C: D3D700E8 0A039110
	buffer_load_dwordx4 a[96:99], v37, s[92:95], 0 offen       // 000000009644: E05C1000 80976025
	v_mfma_i32_16x16x32_i8 v[232:235], a[18:19], v[202:203], v[232:235]// 00000000964C: D3D700E8 0FA39512
	v_mfma_i32_16x16x32_i8 v[232:235], a[20:21], v[204:205], v[232:235]// 000000009654: D3D700E8 0FA39914
	buffer_load_dword v32, s[20:23], 0 offen lds               // 00000000965C: E0511000 80050020
	buffer_load_dword v32, s[20:23], 0 offen offset:256 lds    // 000000009664: E0511100 80050020
	s_add_u32 m0, 0x28a0, s50                                  // 00000000966C: 807C32FF 000028A0
	v_mfma_i32_16x16x32_i8 v[232:235], a[22:23], v[206:207], v[232:235]// 000000009674: D3D700E8 0FA39D16
	v_mfma_i32_16x16x32_i8 v[232:235], a[24:25], v[208:209], v[232:235]// 00000000967C: D3D700E8 0FA3A118
	buffer_load_dwordx4 a[100:103], v37, s[92:95], 0 offen offset:1024// 000000009684: E05C1400 80976425
	v_mfma_i32_16x16x32_i8 v[232:235], a[26:27], v[210:211], v[232:235]// 00000000968C: D3D700E8 0FA3A51A
	v_mfma_i32_16x16x32_i8 v[232:235], a[28:29], v[212:213], v[232:235]// 000000009694: D3D700E8 0FA3A91C
	buffer_load_dword v33, s[20:23], 0 offen lds               // 00000000969C: E0511000 80050021
	buffer_load_dword v33, s[20:23], 0 offen offset:256 lds    // 0000000096A4: E0511100 80050021
	s_add_u32 m0, 0x30c0, s50                                  // 0000000096AC: 807C32FF 000030C0
	v_mfma_i32_16x16x32_i8 v[232:235], a[30:31], v[214:215], v[232:235]// 0000000096B4: D3D700E8 0FA3AD1E
	v_cvt_f32_i32_e32 v236, v236                               // 0000000096BC: 7FD80BEC
	v_cvt_f32_i32_e32 v237, v237                               // 0000000096C0: 7FDA0BED
	v_cvt_f32_i32_e32 v238, v238                               // 0000000096C4: 7FDC0BEE
	v_cvt_f32_i32_e32 v239, v239                               // 0000000096C8: 7FDE0BEF
	v_pk_fma_f32 v[132:133], v[236:237], v[242:243], v[132:133]// 0000000096CC: D3B04084 1E13E5EC
	v_pk_fma_f32 v[134:135], v[238:239], v[242:243], v[134:135]// 0000000096D4: D3B04086 1E1BE5EE
	v_mfma_i32_16x16x32_i8 v[236:239], a[16:17], v[216:217], 0 // 0000000096DC: D3D700EC 0A03B110
	buffer_load_dwordx4 a[104:107], v37, s[92:95], 0 offen offset:2048// 0000000096E4: E05C1800 80976825
	v_mfma_i32_16x16x32_i8 v[236:239], a[18:19], v[218:219], v[236:239]// 0000000096EC: D3D700EC 0FB3B512
	v_mfma_i32_16x16x32_i8 v[236:239], a[20:21], v[220:221], v[236:239]// 0000000096F4: D3D700EC 0FB3B914
	buffer_load_dword v34, s[20:23], 0 offen lds               // 0000000096FC: E0511000 80050022
	buffer_load_dword v34, s[20:23], 0 offen offset:256 lds    // 000000009704: E0511100 80050022
	s_add_u32 m0, 0x38e0, s50                                  // 00000000970C: 807C32FF 000038E0
	v_mfma_i32_16x16x32_i8 v[236:239], a[22:23], v[222:223], v[236:239]// 000000009714: D3D700EC 0FB3BD16
	v_mfma_i32_16x16x32_i8 v[236:239], a[24:25], v[224:225], v[236:239]// 00000000971C: D3D700EC 0FB3C118
	buffer_load_dwordx4 a[108:111], v37, s[92:95], 0 offen offset:3072// 000000009724: E05C1C00 80976C25
	v_mfma_i32_16x16x32_i8 v[236:239], a[26:27], v[226:227], v[236:239]// 00000000972C: D3D700EC 0FB3C51A
	v_mfma_i32_16x16x32_i8 v[236:239], a[28:29], v[228:229], v[236:239]// 000000009734: D3D700EC 0FB3C91C
	buffer_load_dword v35, s[20:23], 0 offen lds               // 00000000973C: E0511000 80050023
	buffer_load_dword v35, s[20:23], 0 offen offset:256 lds    // 000000009744: E0511100 80050023
	s_add_u32 m0, 0, s51                                       // 00000000974C: 807C3380
	v_mfma_i32_16x16x32_i8 v[236:239], a[30:31], v[230:231], v[236:239]// 000000009750: D3D700EC 0FB3CD1E
	buffer_load_dword v14, v6, s[28:31], 0 offen               // 000000009758: E0501000 80070E06
	v_cvt_f32_i32_e32 v232, v232                               // 000000009760: 7FD00BE8
	v_cvt_f32_i32_e32 v233, v233                               // 000000009764: 7FD20BE9
	v_cvt_f32_i32_e32 v234, v234                               // 000000009768: 7FD40BEA
	v_cvt_f32_i32_e32 v235, v235                               // 00000000976C: 7FD60BEB
	v_pk_fma_f32 v[136:137], v[232:233], v[240:241], v[136:137]// 000000009770: D3B04088 1E23E1E8
	v_pk_fma_f32 v[138:139], v[234:235], v[240:241], v[138:139]// 000000009778: D3B0408A 1E2BE1EA
	s_waitcnt vmcnt(33)                                        // 000000009780: BF8C8F71
	v_mfma_i32_16x16x32_i8 v[232:235], a[32:33], v[200:201], 0 // 000000009784: D3D700E8 0A039120
	buffer_load_dwordx4 a[112:115], v38, s[92:95], 0 offen     // 00000000978C: E05C1000 80977026
	v_mfma_i32_16x16x32_i8 v[232:235], a[34:35], v[202:203], v[232:235]// 000000009794: D3D700E8 0FA39522
	v_mfma_i32_16x16x32_i8 v[232:235], a[36:37], v[204:205], v[232:235]// 00000000979C: D3D700E8 0FA39924
	v_mfma_i32_16x16x32_i8 v[232:235], a[38:39], v[206:207], v[232:235]// 0000000097A4: D3D700E8 0FA39D26
	v_mfma_i32_16x16x32_i8 v[232:235], a[40:41], v[208:209], v[232:235]// 0000000097AC: D3D700E8 0FA3A128
	buffer_load_dwordx4 a[116:119], v38, s[92:95], 0 offen offset:1024// 0000000097B4: E05C1400 80977426
	v_mfma_i32_16x16x32_i8 v[232:235], a[42:43], v[210:211], v[232:235]// 0000000097BC: D3D700E8 0FA3A52A
	v_mfma_i32_16x16x32_i8 v[232:235], a[44:45], v[212:213], v[232:235]// 0000000097C4: D3D700E8 0FA3A92C
	v_mfma_i32_16x16x32_i8 v[232:235], a[46:47], v[214:215], v[232:235]// 0000000097CC: D3D700E8 0FA3AD2E
	v_cvt_f32_i32_e32 v236, v236                               // 0000000097D4: 7FD80BEC
	v_cvt_f32_i32_e32 v237, v237                               // 0000000097D8: 7FDA0BED
	v_cvt_f32_i32_e32 v238, v238                               // 0000000097DC: 7FDC0BEE
	v_cvt_f32_i32_e32 v239, v239                               // 0000000097E0: 7FDE0BEF
	v_pk_fma_f32 v[140:141], v[236:237], v[242:243], v[140:141]// 0000000097E4: D3B0408C 1E33E5EC
	v_pk_fma_f32 v[142:143], v[238:239], v[242:243], v[142:143]// 0000000097EC: D3B0408E 1E3BE5EE
	v_mfma_i32_16x16x32_i8 v[236:239], a[32:33], v[216:217], 0 // 0000000097F4: D3D700EC 0A03B120
	buffer_load_dwordx4 a[120:123], v38, s[92:95], 0 offen offset:2048// 0000000097FC: E05C1800 80977826
	v_mfma_i32_16x16x32_i8 v[236:239], a[34:35], v[218:219], v[236:239]// 000000009804: D3D700EC 0FB3B522
	v_mfma_i32_16x16x32_i8 v[236:239], a[36:37], v[220:221], v[236:239]// 00000000980C: D3D700EC 0FB3B924
	v_mfma_i32_16x16x32_i8 v[236:239], a[38:39], v[222:223], v[236:239]// 000000009814: D3D700EC 0FB3BD26
	v_mfma_i32_16x16x32_i8 v[236:239], a[40:41], v[224:225], v[236:239]// 00000000981C: D3D700EC 0FB3C128
	buffer_load_dwordx4 a[124:127], v38, s[92:95], 0 offen offset:3072// 000000009824: E05C1C00 80977C26
	v_mfma_i32_16x16x32_i8 v[236:239], a[42:43], v[226:227], v[236:239]// 00000000982C: D3D700EC 0FB3C52A
	v_mfma_i32_16x16x32_i8 v[236:239], a[44:45], v[228:229], v[236:239]// 000000009834: D3D700EC 0FB3C92C
	v_mfma_i32_16x16x32_i8 v[236:239], a[46:47], v[230:231], v[236:239]// 00000000983C: D3D700EC 0FB3CD2E
	v_cvt_f32_i32_e32 v232, v232                               // 000000009844: 7FD00BE8
	v_cvt_f32_i32_e32 v233, v233                               // 000000009848: 7FD20BE9
	v_cvt_f32_i32_e32 v234, v234                               // 00000000984C: 7FD40BEA
	v_cvt_f32_i32_e32 v235, v235                               // 000000009850: 7FD60BEB
	v_pk_fma_f32 v[144:145], v[232:233], v[240:241], v[144:145]// 000000009854: D3B04090 1E43E1E8
	v_pk_fma_f32 v[146:147], v[234:235], v[240:241], v[146:147]// 00000000985C: D3B04092 1E4BE1EA
	s_waitcnt vmcnt(33)                                        // 000000009864: BF8C8F71
	v_mfma_i32_16x16x32_i8 v[232:235], a[48:49], v[200:201], 0 // 000000009868: D3D700E8 0A039130
	buffer_load_dwordx4 a[128:131], v39, s[92:95], 0 offen     // 000000009870: E05C1000 80978027
	v_mfma_i32_16x16x32_i8 v[232:235], a[50:51], v[202:203], v[232:235]// 000000009878: D3D700E8 0FA39532
	v_mfma_i32_16x16x32_i8 v[232:235], a[52:53], v[204:205], v[232:235]// 000000009880: D3D700E8 0FA39934
	v_mfma_i32_16x16x32_i8 v[232:235], a[54:55], v[206:207], v[232:235]// 000000009888: D3D700E8 0FA39D36
	v_mfma_i32_16x16x32_i8 v[232:235], a[56:57], v[208:209], v[232:235]// 000000009890: D3D700E8 0FA3A138
	buffer_load_dwordx4 a[132:135], v39, s[92:95], 0 offen offset:1024// 000000009898: E05C1400 80978427
	v_mfma_i32_16x16x32_i8 v[232:235], a[58:59], v[210:211], v[232:235]// 0000000098A0: D3D700E8 0FA3A53A
	v_mfma_i32_16x16x32_i8 v[232:235], a[60:61], v[212:213], v[232:235]// 0000000098A8: D3D700E8 0FA3A93C
	v_mfma_i32_16x16x32_i8 v[232:235], a[62:63], v[214:215], v[232:235]// 0000000098B0: D3D700E8 0FA3AD3E
	v_cvt_f32_i32_e32 v236, v236                               // 0000000098B8: 7FD80BEC
	v_cvt_f32_i32_e32 v237, v237                               // 0000000098BC: 7FDA0BED
	v_cvt_f32_i32_e32 v238, v238                               // 0000000098C0: 7FDC0BEE
	v_cvt_f32_i32_e32 v239, v239                               // 0000000098C4: 7FDE0BEF
	v_pk_fma_f32 v[148:149], v[236:237], v[242:243], v[148:149]// 0000000098C8: D3B04094 1E53E5EC
	v_pk_fma_f32 v[150:151], v[238:239], v[242:243], v[150:151]// 0000000098D0: D3B04096 1E5BE5EE
	v_mfma_i32_16x16x32_i8 v[236:239], a[48:49], v[216:217], 0 // 0000000098D8: D3D700EC 0A03B130
	buffer_load_dwordx4 a[136:139], v39, s[92:95], 0 offen offset:2048// 0000000098E0: E05C1800 80978827
	v_mfma_i32_16x16x32_i8 v[236:239], a[50:51], v[218:219], v[236:239]// 0000000098E8: D3D700EC 0FB3B532
	v_mfma_i32_16x16x32_i8 v[236:239], a[52:53], v[220:221], v[236:239]// 0000000098F0: D3D700EC 0FB3B934
	v_mfma_i32_16x16x32_i8 v[236:239], a[54:55], v[222:223], v[236:239]// 0000000098F8: D3D700EC 0FB3BD36
	v_mfma_i32_16x16x32_i8 v[236:239], a[56:57], v[224:225], v[236:239]// 000000009900: D3D700EC 0FB3C138
	buffer_load_dwordx4 a[140:143], v39, s[92:95], 0 offen offset:3072// 000000009908: E05C1C00 80978C27
	v_mfma_i32_16x16x32_i8 v[236:239], a[58:59], v[226:227], v[236:239]// 000000009910: D3D700EC 0FB3C53A
	v_mfma_i32_16x16x32_i8 v[236:239], a[60:61], v[228:229], v[236:239]// 000000009918: D3D700EC 0FB3C93C
	v_mfma_i32_16x16x32_i8 v[236:239], a[62:63], v[230:231], v[236:239]// 000000009920: D3D700EC 0FB3CD3E
	v_cvt_f32_i32_e32 v232, v232                               // 000000009928: 7FD00BE8
	v_cvt_f32_i32_e32 v233, v233                               // 00000000992C: 7FD20BE9
	v_cvt_f32_i32_e32 v234, v234                               // 000000009930: 7FD40BEA
	v_cvt_f32_i32_e32 v235, v235                               // 000000009934: 7FD60BEB
	v_pk_fma_f32 v[152:153], v[232:233], v[240:241], v[152:153]// 000000009938: D3B04098 1E63E1E8
	v_pk_fma_f32 v[154:155], v[234:235], v[240:241], v[154:155]// 000000009940: D3B0409A 1E6BE1EA
	s_waitcnt vmcnt(33)                                        // 000000009948: BF8C8F71
	v_mfma_i32_16x16x32_i8 v[232:235], a[64:65], v[200:201], 0 // 00000000994C: D3D700E8 0A039140
	buffer_load_dwordx4 a[144:147], v40, s[92:95], 0 offen     // 000000009954: E05C1000 80979028
	v_mfma_i32_16x16x32_i8 v[232:235], a[66:67], v[202:203], v[232:235]// 00000000995C: D3D700E8 0FA39542
	v_mfma_i32_16x16x32_i8 v[232:235], a[68:69], v[204:205], v[232:235]// 000000009964: D3D700E8 0FA39944
	v_mfma_i32_16x16x32_i8 v[232:235], a[70:71], v[206:207], v[232:235]// 00000000996C: D3D700E8 0FA39D46
	v_mfma_i32_16x16x32_i8 v[232:235], a[72:73], v[208:209], v[232:235]// 000000009974: D3D700E8 0FA3A148
	buffer_load_dwordx4 a[148:151], v40, s[92:95], 0 offen offset:1024// 00000000997C: E05C1400 80979428
	v_mfma_i32_16x16x32_i8 v[232:235], a[74:75], v[210:211], v[232:235]// 000000009984: D3D700E8 0FA3A54A
	v_mfma_i32_16x16x32_i8 v[232:235], a[76:77], v[212:213], v[232:235]// 00000000998C: D3D700E8 0FA3A94C
	v_mfma_i32_16x16x32_i8 v[232:235], a[78:79], v[214:215], v[232:235]// 000000009994: D3D700E8 0FA3AD4E
	v_cvt_f32_i32_e32 v236, v236                               // 00000000999C: 7FD80BEC
	v_cvt_f32_i32_e32 v237, v237                               // 0000000099A0: 7FDA0BED
	v_cvt_f32_i32_e32 v238, v238                               // 0000000099A4: 7FDC0BEE
	v_cvt_f32_i32_e32 v239, v239                               // 0000000099A8: 7FDE0BEF
	v_pk_fma_f32 v[156:157], v[236:237], v[242:243], v[156:157]// 0000000099AC: D3B0409C 1E73E5EC
	v_pk_fma_f32 v[158:159], v[238:239], v[242:243], v[158:159]// 0000000099B4: D3B0409E 1E7BE5EE
	v_mfma_i32_16x16x32_i8 v[236:239], a[64:65], v[216:217], 0 // 0000000099BC: D3D700EC 0A03B140
	buffer_load_dwordx4 a[152:155], v40, s[92:95], 0 offen offset:2048// 0000000099C4: E05C1800 80979828
	v_mfma_i32_16x16x32_i8 v[236:239], a[66:67], v[218:219], v[236:239]// 0000000099CC: D3D700EC 0FB3B542
	v_mfma_i32_16x16x32_i8 v[236:239], a[68:69], v[220:221], v[236:239]// 0000000099D4: D3D700EC 0FB3B944
	v_mfma_i32_16x16x32_i8 v[236:239], a[70:71], v[222:223], v[236:239]// 0000000099DC: D3D700EC 0FB3BD46
	v_mfma_i32_16x16x32_i8 v[236:239], a[72:73], v[224:225], v[236:239]// 0000000099E4: D3D700EC 0FB3C148
	buffer_load_dwordx4 a[156:159], v40, s[92:95], 0 offen offset:3072// 0000000099EC: E05C1C00 80979C28
	v_mfma_i32_16x16x32_i8 v[236:239], a[74:75], v[226:227], v[236:239]// 0000000099F4: D3D700EC 0FB3C54A
	v_mfma_i32_16x16x32_i8 v[236:239], a[76:77], v[228:229], v[236:239]// 0000000099FC: D3D700EC 0FB3C94C
	v_mfma_i32_16x16x32_i8 v[236:239], a[78:79], v[230:231], v[236:239]// 000000009A04: D3D700EC 0FB3CD4E
	v_cvt_f32_i32_e32 v232, v232                               // 000000009A0C: 7FD00BE8
	v_cvt_f32_i32_e32 v233, v233                               // 000000009A10: 7FD20BE9
	v_cvt_f32_i32_e32 v234, v234                               // 000000009A14: 7FD40BEA
	v_cvt_f32_i32_e32 v235, v235                               // 000000009A18: 7FD60BEB
	v_pk_fma_f32 v[160:161], v[232:233], v[240:241], v[160:161]// 000000009A1C: D3B040A0 1E83E1E8
	v_pk_fma_f32 v[162:163], v[234:235], v[240:241], v[162:163]// 000000009A24: D3B040A2 1E8BE1EA
	v_cvt_f32_i32_e32 v236, v236                               // 000000009A2C: 7FD80BEC
	v_cvt_f32_i32_e32 v237, v237                               // 000000009A30: 7FDA0BED
	v_cvt_f32_i32_e32 v238, v238                               // 000000009A34: 7FDC0BEE
	v_cvt_f32_i32_e32 v239, v239                               // 000000009A38: 7FDE0BEF
	v_pk_fma_f32 v[164:165], v[236:237], v[242:243], v[164:165]// 000000009A3C: D3B040A4 1E93E5EC
	v_pk_fma_f32 v[166:167], v[238:239], v[242:243], v[166:167]// 000000009A44: D3B040A6 1E9BE5EE
	s_waitcnt vmcnt(12)                                        // 000000009A4C: BF8C0F7C
	s_barrier                                                  // 000000009A50: BF8A0000
	v_mfma_i32_16x16x32_i8 v[232:235], a[80:81], v[200:201], 0 // 000000009A54: D3D700E8 0A039150
	buffer_load_dwordx4 a[0:3], v36, s[24:27], 0 offen         // 000000009A5C: E05C1000 80860024
	v_mfma_i32_16x16x32_i8 v[232:235], a[82:83], v[202:203], v[232:235]// 000000009A64: D3D700E8 0FA39552
	ds_read_b64 v[168:169], v2 offset:2048                     // 000000009A6C: D8EC0800 A8000002
	ds_read_b64 v[172:173], v2 offset:10368                    // 000000009A74: D8EC2880 AC000002
	v_mfma_i32_16x16x32_i8 v[232:235], a[84:85], v[204:205], v[232:235]// 000000009A7C: D3D700E8 0FA39954
	v_mfma_i32_16x16x32_i8 v[232:235], a[86:87], v[206:207], v[232:235]// 000000009A84: D3D700E8 0FA39D56
	ds_read_b64 v[176:177], v2 offset:2176                     // 000000009A8C: D8EC0880 B0000002
	ds_read_b64 v[180:181], v2 offset:10496                    // 000000009A94: D8EC2900 B4000002
	v_mfma_i32_16x16x32_i8 v[232:235], a[88:89], v[208:209], v[232:235]// 000000009A9C: D3D700E8 0FA3A158
	buffer_load_dwordx4 a[4:7], v36, s[24:27], 0 offen offset:1024// 000000009AA4: E05C1400 80860424
	v_mfma_i32_16x16x32_i8 v[232:235], a[90:91], v[210:211], v[232:235]// 000000009AAC: D3D700E8 0FA3A55A
	ds_read_b64 v[184:185], v2 offset:2304                     // 000000009AB4: D8EC0900 B8000002
	ds_read_b64 v[188:189], v2 offset:10624                    // 000000009ABC: D8EC2980 BC000002
	v_mfma_i32_16x16x32_i8 v[232:235], a[92:93], v[212:213], v[232:235]// 000000009AC4: D3D700E8 0FA3A95C
	v_mfma_i32_16x16x32_i8 v[232:235], a[94:95], v[214:215], v[232:235]// 000000009ACC: D3D700E8 0FA3AD5E
	ds_read_b64 v[192:193], v2 offset:2432                     // 000000009AD4: D8EC0980 C0000002
	ds_read_b64 v[196:197], v2 offset:10752                    // 000000009ADC: D8EC2A00 C4000002
	s_waitcnt lgkmcnt(4)                                       // 000000009AE4: BF8CC47F
	v_and_b32_e32 v171, 0xffff0000, v169                       // 000000009AE8: 275752FF FFFF0000
	v_lshlrev_b32_e32 v170, 16, v169                           // 000000009AF0: 25555290
	v_and_b32_e32 v169, 0xffff0000, v168                       // 000000009AF4: 275350FF FFFF0000
	v_lshlrev_b32_e32 v168, 16, v168                           // 000000009AFC: 25515090
	v_and_b32_e32 v175, 0xffff0000, v173                       // 000000009B00: 275F5AFF FFFF0000
	v_lshlrev_b32_e32 v174, 16, v173                           // 000000009B08: 255D5A90
	v_and_b32_e32 v173, 0xffff0000, v172                       // 000000009B0C: 275B58FF FFFF0000
	v_lshlrev_b32_e32 v172, 16, v172                           // 000000009B14: 25595890
	v_and_b32_e32 v179, 0xffff0000, v177                       // 000000009B18: 276762FF FFFF0000
	v_lshlrev_b32_e32 v178, 16, v177                           // 000000009B20: 25656290
	v_and_b32_e32 v177, 0xffff0000, v176                       // 000000009B24: 276360FF FFFF0000
	v_lshlrev_b32_e32 v176, 16, v176                           // 000000009B2C: 25616090
	v_and_b32_e32 v183, 0xffff0000, v181                       // 000000009B30: 276F6AFF FFFF0000
	v_lshlrev_b32_e32 v182, 16, v181                           // 000000009B38: 256D6A90
	v_and_b32_e32 v181, 0xffff0000, v180                       // 000000009B3C: 276B68FF FFFF0000
	v_lshlrev_b32_e32 v180, 16, v180                           // 000000009B44: 25696890
	v_mul_f32_dpp v168, v14, v168 row_newbcast:0 row_mask:0xf bank_mask:0xf// 000000009B48: 0B5150FA FF01500E
	v_mul_f32_dpp v169, v14, v169 row_newbcast:1 row_mask:0xf bank_mask:0xf// 000000009B50: 0B5352FA FF01510E
	v_mul_f32_dpp v170, v14, v170 row_newbcast:2 row_mask:0xf bank_mask:0xf// 000000009B58: 0B5554FA FF01520E
	v_mul_f32_dpp v171, v14, v171 row_newbcast:3 row_mask:0xf bank_mask:0xf// 000000009B60: 0B5756FA FF01530E
	v_mul_f32_dpp v172, v14, v172 row_newbcast:0 row_mask:0xf bank_mask:0xf// 000000009B68: 0B5958FA FF01500E
	v_mul_f32_dpp v173, v14, v173 row_newbcast:1 row_mask:0xf bank_mask:0xf// 000000009B70: 0B5B5AFA FF01510E
	v_mul_f32_dpp v174, v14, v174 row_newbcast:2 row_mask:0xf bank_mask:0xf// 000000009B78: 0B5D5CFA FF01520E
	v_mul_f32_dpp v175, v14, v175 row_newbcast:3 row_mask:0xf bank_mask:0xf// 000000009B80: 0B5F5EFA FF01530E
	v_mul_f32_dpp v176, v14, v176 row_newbcast:4 row_mask:0xf bank_mask:0xf// 000000009B88: 0B6160FA FF01540E
	v_mul_f32_dpp v177, v14, v177 row_newbcast:5 row_mask:0xf bank_mask:0xf// 000000009B90: 0B6362FA FF01550E
	v_mul_f32_dpp v178, v14, v178 row_newbcast:6 row_mask:0xf bank_mask:0xf// 000000009B98: 0B6564FA FF01560E
	v_mul_f32_dpp v179, v14, v179 row_newbcast:7 row_mask:0xf bank_mask:0xf// 000000009BA0: 0B6766FA FF01570E
	v_mul_f32_dpp v180, v14, v180 row_newbcast:4 row_mask:0xf bank_mask:0xf// 000000009BA8: 0B6968FA FF01540E
	v_mul_f32_dpp v181, v14, v181 row_newbcast:5 row_mask:0xf bank_mask:0xf// 000000009BB0: 0B6B6AFA FF01550E
	v_mul_f32_dpp v182, v14, v182 row_newbcast:6 row_mask:0xf bank_mask:0xf// 000000009BB8: 0B6D6CFA FF01560E
	v_mul_f32_dpp v183, v14, v183 row_newbcast:7 row_mask:0xf bank_mask:0xf// 000000009BC0: 0B6F6EFA FF01570E
	v_mfma_i32_16x16x32_i8 v[236:239], a[80:81], v[216:217], 0 // 000000009BC8: D3D700EC 0A03B150
	buffer_load_dwordx4 a[8:11], v36, s[24:27], 0 offen offset:2048// 000000009BD0: E05C1800 80860824
	v_mfma_i32_16x16x32_i8 v[236:239], a[82:83], v[218:219], v[236:239]// 000000009BD8: D3D700EC 0FB3B552
	v_mfma_i32_16x16x32_i8 v[236:239], a[84:85], v[220:221], v[236:239]// 000000009BE0: D3D700EC 0FB3B954
	v_mfma_i32_16x16x32_i8 v[236:239], a[86:87], v[222:223], v[236:239]// 000000009BE8: D3D700EC 0FB3BD56
	v_mfma_i32_16x16x32_i8 v[236:239], a[88:89], v[224:225], v[236:239]// 000000009BF0: D3D700EC 0FB3C158
	buffer_load_dwordx4 a[12:15], v36, s[24:27], 0 offen offset:3072// 000000009BF8: E05C1C00 80860C24
	v_mfma_i32_16x16x32_i8 v[236:239], a[90:91], v[226:227], v[236:239]// 000000009C00: D3D700EC 0FB3C55A
	v_mfma_i32_16x16x32_i8 v[236:239], a[92:93], v[228:229], v[236:239]// 000000009C08: D3D700EC 0FB3C95C
	v_mfma_i32_16x16x32_i8 v[236:239], a[94:95], v[230:231], v[236:239]// 000000009C10: D3D700EC 0FB3CD5E
	s_waitcnt lgkmcnt(0)                                       // 000000009C18: BF8CC07F
	v_and_b32_e32 v187, 0xffff0000, v185                       // 000000009C1C: 277772FF FFFF0000
	v_lshlrev_b32_e32 v186, 16, v185                           // 000000009C24: 25757290
	v_and_b32_e32 v185, 0xffff0000, v184                       // 000000009C28: 277370FF FFFF0000
	v_lshlrev_b32_e32 v184, 16, v184                           // 000000009C30: 25717090
	v_and_b32_e32 v191, 0xffff0000, v189                       // 000000009C34: 277F7AFF FFFF0000
	v_lshlrev_b32_e32 v190, 16, v189                           // 000000009C3C: 257D7A90
	v_and_b32_e32 v189, 0xffff0000, v188                       // 000000009C40: 277B78FF FFFF0000
	v_lshlrev_b32_e32 v188, 16, v188                           // 000000009C48: 25797890
	v_and_b32_e32 v195, 0xffff0000, v193                       // 000000009C4C: 278782FF FFFF0000
	v_lshlrev_b32_e32 v194, 16, v193                           // 000000009C54: 25858290
	v_and_b32_e32 v193, 0xffff0000, v192                       // 000000009C58: 278380FF FFFF0000
	v_lshlrev_b32_e32 v192, 16, v192                           // 000000009C60: 25818090
	v_and_b32_e32 v199, 0xffff0000, v197                       // 000000009C64: 278F8AFF FFFF0000
	v_lshlrev_b32_e32 v198, 16, v197                           // 000000009C6C: 258D8A90
	v_and_b32_e32 v197, 0xffff0000, v196                       // 000000009C70: 278B88FF FFFF0000
	v_lshlrev_b32_e32 v196, 16, v196                           // 000000009C78: 25898890
	v_mul_f32_dpp v184, v14, v184 row_newbcast:8 row_mask:0xf bank_mask:0xf// 000000009C7C: 0B7170FA FF01580E
	v_mul_f32_dpp v185, v14, v185 row_newbcast:9 row_mask:0xf bank_mask:0xf// 000000009C84: 0B7372FA FF01590E
	v_mul_f32_dpp v186, v14, v186 row_newbcast:10 row_mask:0xf bank_mask:0xf// 000000009C8C: 0B7574FA FF015A0E
	v_mul_f32_dpp v187, v14, v187 row_newbcast:11 row_mask:0xf bank_mask:0xf// 000000009C94: 0B7776FA FF015B0E
	v_mul_f32_dpp v188, v14, v188 row_newbcast:8 row_mask:0xf bank_mask:0xf// 000000009C9C: 0B7978FA FF01580E
	v_mul_f32_dpp v189, v14, v189 row_newbcast:9 row_mask:0xf bank_mask:0xf// 000000009CA4: 0B7B7AFA FF01590E
	v_mul_f32_dpp v190, v14, v190 row_newbcast:10 row_mask:0xf bank_mask:0xf// 000000009CAC: 0B7D7CFA FF015A0E
	v_mul_f32_dpp v191, v14, v191 row_newbcast:11 row_mask:0xf bank_mask:0xf// 000000009CB4: 0B7F7EFA FF015B0E
	v_mul_f32_dpp v192, v14, v192 row_newbcast:12 row_mask:0xf bank_mask:0xf// 000000009CBC: 0B8180FA FF015C0E
	v_mul_f32_dpp v193, v14, v193 row_newbcast:13 row_mask:0xf bank_mask:0xf// 000000009CC4: 0B8382FA FF015D0E
	v_mul_f32_dpp v194, v14, v194 row_newbcast:14 row_mask:0xf bank_mask:0xf// 000000009CCC: 0B8584FA FF015E0E
	v_mul_f32_dpp v195, v14, v195 row_newbcast:15 row_mask:0xf bank_mask:0xf// 000000009CD4: 0B8786FA FF015F0E
	v_mul_f32_dpp v196, v14, v196 row_newbcast:12 row_mask:0xf bank_mask:0xf// 000000009CDC: 0B8988FA FF015C0E
	v_mul_f32_dpp v197, v14, v197 row_newbcast:13 row_mask:0xf bank_mask:0xf// 000000009CE4: 0B8B8AFA FF015D0E
	v_mul_f32_dpp v198, v14, v198 row_newbcast:14 row_mask:0xf bank_mask:0xf// 000000009CEC: 0B8D8CFA FF015E0E
	v_mul_f32_dpp v199, v14, v199 row_newbcast:15 row_mask:0xf bank_mask:0xf// 000000009CF4: 0B8F8EFA FF015F0E
	v_cvt_f32_i32_e32 v232, v232                               // 000000009CFC: 7FD00BE8
	v_cvt_f32_i32_e32 v233, v233                               // 000000009D00: 7FD20BE9
	v_cvt_f32_i32_e32 v234, v234                               // 000000009D04: 7FD40BEA
	v_cvt_f32_i32_e32 v235, v235                               // 000000009D08: 7FD60BEB
	v_pk_fma_f32 v[64:65], v[232:233], v[240:241], v[64:65]    // 000000009D0C: D3B04040 1D03E1E8
	v_pk_fma_f32 v[66:67], v[234:235], v[240:241], v[66:67]    // 000000009D14: D3B04042 1D0BE1EA
	v_mfma_i32_16x16x32_i8 v[232:235], a[96:97], v[200:201], 0 // 000000009D1C: D3D700E8 0A039160
	buffer_load_dwordx4 a[16:19], v37, s[24:27], 0 offen       // 000000009D24: E05C1000 80861025
	v_mfma_i32_16x16x32_i8 v[232:235], a[98:99], v[202:203], v[232:235]// 000000009D2C: D3D700E8 0FA39562
	v_mov_b32_e32 v46, 0x358637bd                              // 000000009D34: 7E5C02FF 358637BD
	v_mov_b32_e32 v47, 0x358637bd                              // 000000009D3C: 7E5E02FF 358637BD
	v_max3_f32 v46, |v168|, |v169|, v46                        // 000000009D44: D1D3032E 04BB53A8
	v_max3_f32 v46, |v170|, |v171|, v46                        // 000000009D4C: D1D3032E 04BB57AA
	v_max3_f32 v47, |v172|, |v173|, v47                        // 000000009D54: D1D3032F 04BF5BAC
	v_max3_f32 v47, |v174|, |v175|, v47                        // 000000009D5C: D1D3032F 04BF5FAE
	v_max3_f32 v46, |v176|, |v177|, v46                        // 000000009D64: D1D3032E 04BB63B0
	v_max3_f32 v46, |v178|, |v179|, v46                        // 000000009D6C: D1D3032E 04BB67B2
	v_max3_f32 v47, |v180|, |v181|, v47                        // 000000009D74: D1D3032F 04BF6BB4
	v_max3_f32 v47, |v182|, |v183|, v47                        // 000000009D7C: D1D3032F 04BF6FB6
	v_max3_f32 v46, |v184|, |v185|, v46                        // 000000009D84: D1D3032E 04BB73B8
	v_max3_f32 v46, |v186|, |v187|, v46                        // 000000009D8C: D1D3032E 04BB77BA
	v_max3_f32 v47, |v188|, |v189|, v47                        // 000000009D94: D1D3032F 04BF7BBC
	v_max3_f32 v47, |v190|, |v191|, v47                        // 000000009D9C: D1D3032F 04BF7FBE
	v_max3_f32 v46, |v192|, |v193|, v46                        // 000000009DA4: D1D3032E 04BB83C0
	v_max3_f32 v46, |v194|, |v195|, v46                        // 000000009DAC: D1D3032E 04BB87C2
	v_max3_f32 v47, |v196|, |v197|, v47                        // 000000009DB4: D1D3032F 04BF8BC4
	v_max3_f32 v47, |v198|, |v199|, v47                        // 000000009DBC: D1D3032F 04BF8FC6
	v_mfma_i32_16x16x32_i8 v[232:235], a[100:101], v[204:205], v[232:235]// 000000009DC4: D3D700E8 0FA39964
	v_mfma_i32_16x16x32_i8 v[232:235], a[102:103], v[206:207], v[232:235]// 000000009DCC: D3D700E8 0FA39D66
	ds_write_b64 v3, v[46:47]                                  // 000000009DD4: D89A0000 00002E03
	v_mfma_i32_16x16x32_i8 v[232:235], a[104:105], v[208:209], v[232:235]// 000000009DDC: D3D700E8 0FA3A168
	buffer_load_dwordx4 a[20:23], v37, s[24:27], 0 offen offset:1024// 000000009DE4: E05C1400 80861425
	v_mfma_i32_16x16x32_i8 v[232:235], a[106:107], v[210:211], v[232:235]// 000000009DEC: D3D700E8 0FA3A56A
	s_waitcnt lgkmcnt(0)                                       // 000000009DF4: BF8CC07F
	s_barrier                                                  // 000000009DF8: BF8A0000
	v_mfma_i32_16x16x32_i8 v[232:235], a[108:109], v[212:213], v[232:235]// 000000009DFC: D3D700E8 0FA3A96C
	v_mfma_i32_16x16x32_i8 v[232:235], a[110:111], v[214:215], v[232:235]// 000000009E04: D3D700E8 0FA3AD6E
	ds_read_b64 v[46:47], v4                                   // 000000009E0C: D8EC0000 2E000004
	ds_read_b64 v[48:49], v4 offset:128                        // 000000009E14: D8EC0080 30000004
	v_cvt_f32_i32_e32 v236, v236                               // 000000009E1C: 7FD80BEC
	v_cvt_f32_i32_e32 v237, v237                               // 000000009E20: 7FDA0BED
	v_cvt_f32_i32_e32 v238, v238                               // 000000009E24: 7FDC0BEE
	v_cvt_f32_i32_e32 v239, v239                               // 000000009E28: 7FDE0BEF
	v_pk_fma_f32 v[68:69], v[236:237], v[242:243], v[68:69]    // 000000009E2C: D3B04044 1D13E5EC
	v_pk_fma_f32 v[70:71], v[238:239], v[242:243], v[70:71]    // 000000009E34: D3B04046 1D1BE5EE
	v_mfma_i32_16x16x32_i8 v[236:239], a[96:97], v[216:217], 0 // 000000009E3C: D3D700EC 0A03B160
	buffer_load_dwordx4 a[24:27], v37, s[24:27], 0 offen offset:2048// 000000009E44: E05C1800 80861825
	v_mfma_i32_16x16x32_i8 v[236:239], a[98:99], v[218:219], v[236:239]// 000000009E4C: D3D700EC 0FB3B562
	ds_read_b64 v[50:51], v4 offset:256                        // 000000009E54: D8EC0100 32000004
	ds_read_b64 v[52:53], v4 offset:384                        // 000000009E5C: D8EC0180 34000004
	v_mfma_i32_16x16x32_i8 v[236:239], a[100:101], v[220:221], v[236:239]// 000000009E64: D3D700EC 0FB3B964
	v_mfma_i32_16x16x32_i8 v[236:239], a[102:103], v[222:223], v[236:239]// 000000009E6C: D3D700EC 0FB3BD66
	ds_read_b64 v[54:55], v4 offset:512                        // 000000009E74: D8EC0200 36000004
	ds_read_b64 v[56:57], v4 offset:640                        // 000000009E7C: D8EC0280 38000004
	v_mfma_i32_16x16x32_i8 v[236:239], a[104:105], v[224:225], v[236:239]// 000000009E84: D3D700EC 0FB3C168
	buffer_load_dwordx4 a[28:31], v37, s[24:27], 0 offen offset:3072// 000000009E8C: E05C1C00 80861C25
	v_mfma_i32_16x16x32_i8 v[236:239], a[106:107], v[226:227], v[236:239]// 000000009E94: D3D700EC 0FB3C56A
	ds_read_b64 v[58:59], v4 offset:768                        // 000000009E9C: D8EC0300 3A000004
	ds_read_b64 v[60:61], v4 offset:896                        // 000000009EA4: D8EC0380 3C000004
	v_mfma_i32_16x16x32_i8 v[236:239], a[108:109], v[228:229], v[236:239]// 000000009EAC: D3D700EC 0FB3C96C
	v_mfma_i32_16x16x32_i8 v[236:239], a[110:111], v[230:231], v[236:239]// 000000009EB4: D3D700EC 0FB3CD6E
	v_cvt_f32_i32_e32 v232, v232                               // 000000009EBC: 7FD00BE8
	v_cvt_f32_i32_e32 v233, v233                               // 000000009EC0: 7FD20BE9
	v_cvt_f32_i32_e32 v234, v234                               // 000000009EC4: 7FD40BEA
	v_cvt_f32_i32_e32 v235, v235                               // 000000009EC8: 7FD60BEB
	v_pk_fma_f32 v[72:73], v[232:233], v[240:241], v[72:73]    // 000000009ECC: D3B04048 1D23E1E8
	v_pk_fma_f32 v[74:75], v[234:235], v[240:241], v[74:75]    // 000000009ED4: D3B0404A 1D2BE1EA
	s_waitcnt vmcnt(16)                                        // 000000009EDC: BF8C4F70
	v_mfma_i32_16x16x32_i8 v[232:235], a[112:113], v[200:201], 0// 000000009EE0: D3D700E8 0A039170
	buffer_load_dwordx4 a[32:35], v38, s[24:27], 0 offen       // 000000009EE8: E05C1000 80862026
	v_mfma_i32_16x16x32_i8 v[232:235], a[114:115], v[202:203], v[232:235]// 000000009EF0: D3D700E8 0FA39572
	s_waitcnt lgkmcnt(0)                                       // 000000009EF8: BF8CC07F
	v_mov_b32_e32 v22, 0x358637bd                              // 000000009EFC: 7E2C02FF 358637BD
	v_mov_b32_e32 v23, 0x358637bd                              // 000000009F04: 7E2E02FF 358637BD
	v_max3_f32 v22, |v46|, |v48|, v22                          // 000000009F0C: D1D30316 045A612E
	v_max3_f32 v23, |v47|, |v49|, v23                          // 000000009F14: D1D30317 045E632F
	v_max3_f32 v22, |v50|, |v52|, v22                          // 000000009F1C: D1D30316 045A6932
	v_max3_f32 v23, |v51|, |v53|, v23                          // 000000009F24: D1D30317 045E6B33
	v_max3_f32 v22, |v54|, |v56|, v22                          // 000000009F2C: D1D30316 045A7136
	v_max3_f32 v23, |v55|, |v57|, v23                          // 000000009F34: D1D30317 045E7337
	v_max3_f32 v22, |v58|, |v60|, v22                          // 000000009F3C: D1D30316 045A793A
	v_max3_f32 v23, |v59|, |v61|, v23                          // 000000009F44: D1D30317 045E7B3B
	v_mfma_i32_16x16x32_i8 v[232:235], a[116:117], v[204:205], v[232:235]// 000000009F4C: D3D700E8 0FA39974
	v_mfma_i32_16x16x32_i8 v[232:235], a[118:119], v[206:207], v[232:235]// 000000009F54: D3D700E8 0FA39D76
	ds_read_b64 v[46:47], v4 offset:1024                       // 000000009F5C: D8EC0400 2E000004
	ds_read_b64 v[48:49], v4 offset:1152                       // 000000009F64: D8EC0480 30000004
	v_mfma_i32_16x16x32_i8 v[232:235], a[120:121], v[208:209], v[232:235]// 000000009F6C: D3D700E8 0FA3A178
	buffer_load_dwordx4 a[36:39], v38, s[24:27], 0 offen offset:1024// 000000009F74: E05C1400 80862426
	v_mfma_i32_16x16x32_i8 v[232:235], a[122:123], v[210:211], v[232:235]// 000000009F7C: D3D700E8 0FA3A57A
	ds_read_b64 v[50:51], v4 offset:1280                       // 000000009F84: D8EC0500 32000004
	ds_read_b64 v[52:53], v4 offset:1408                       // 000000009F8C: D8EC0580 34000004
	v_mfma_i32_16x16x32_i8 v[232:235], a[124:125], v[212:213], v[232:235]// 000000009F94: D3D700E8 0FA3A97C
	v_mfma_i32_16x16x32_i8 v[232:235], a[126:127], v[214:215], v[232:235]// 000000009F9C: D3D700E8 0FA3AD7E
	ds_read_b64 v[54:55], v4 offset:1536                       // 000000009FA4: D8EC0600 36000004
	ds_read_b64 v[56:57], v4 offset:1664                       // 000000009FAC: D8EC0680 38000004
	v_cvt_f32_i32_e32 v236, v236                               // 000000009FB4: 7FD80BEC
	v_cvt_f32_i32_e32 v237, v237                               // 000000009FB8: 7FDA0BED
	v_cvt_f32_i32_e32 v238, v238                               // 000000009FBC: 7FDC0BEE
	v_cvt_f32_i32_e32 v239, v239                               // 000000009FC0: 7FDE0BEF
	v_pk_fma_f32 v[76:77], v[236:237], v[242:243], v[76:77]    // 000000009FC4: D3B0404C 1D33E5EC
	v_pk_fma_f32 v[78:79], v[238:239], v[242:243], v[78:79]    // 000000009FCC: D3B0404E 1D3BE5EE
	v_mfma_i32_16x16x32_i8 v[236:239], a[112:113], v[216:217], 0// 000000009FD4: D3D700EC 0A03B170
	buffer_load_dwordx4 a[40:43], v38, s[24:27], 0 offen offset:2048// 000000009FDC: E05C1800 80862826
	v_mfma_i32_16x16x32_i8 v[236:239], a[114:115], v[218:219], v[236:239]// 000000009FE4: D3D700EC 0FB3B572
	ds_read_b64 v[58:59], v4 offset:1792                       // 000000009FEC: D8EC0700 3A000004
	ds_read_b64 v[60:61], v4 offset:1920                       // 000000009FF4: D8EC0780 3C000004
	v_mfma_i32_16x16x32_i8 v[236:239], a[116:117], v[220:221], v[236:239]// 000000009FFC: D3D700EC 0FB3B974
	v_mfma_i32_16x16x32_i8 v[236:239], a[118:119], v[222:223], v[236:239]// 00000000A004: D3D700EC 0FB3BD76
	v_mfma_i32_16x16x32_i8 v[236:239], a[120:121], v[224:225], v[236:239]// 00000000A00C: D3D700EC 0FB3C178
	buffer_load_dwordx4 a[44:47], v38, s[24:27], 0 offen offset:3072// 00000000A014: E05C1C00 80862C26
	v_mfma_i32_16x16x32_i8 v[236:239], a[122:123], v[226:227], v[236:239]// 00000000A01C: D3D700EC 0FB3C57A
	s_waitcnt lgkmcnt(0)                                       // 00000000A024: BF8CC07F
	v_max3_f32 v22, |v46|, |v48|, v22                          // 00000000A028: D1D30316 045A612E
	v_max3_f32 v23, |v47|, |v49|, v23                          // 00000000A030: D1D30317 045E632F
	v_max3_f32 v22, |v50|, |v52|, v22                          // 00000000A038: D1D30316 045A6932
	v_max3_f32 v23, |v51|, |v53|, v23                          // 00000000A040: D1D30317 045E6B33
	v_max3_f32 v22, |v54|, |v56|, v22                          // 00000000A048: D1D30316 045A7136
	v_max3_f32 v23, |v55|, |v57|, v23                          // 00000000A050: D1D30317 045E7337
	v_max3_f32 v22, |v58|, |v60|, v22                          // 00000000A058: D1D30316 045A793A
	v_max3_f32 v23, |v59|, |v61|, v23                          // 00000000A060: D1D30317 045E7B3B
	v_mov_b32_e32 v42, 0x42fe0000                              // 00000000A068: 7E5402FF 42FE0000
	v_rcp_f32_e32 v22, v22                                     // 00000000A070: 7E2C4516
	v_rcp_f32_e32 v23, v23                                     // 00000000A074: 7E2E4517
	s_nop 1                                                    // 00000000A078: BF800001
	v_mul_f32_e32 v22, v42, v22                                // 00000000A07C: 0A2C2D2A
	v_mul_f32_e32 v23, v42, v23                                // 00000000A080: 0A2E2F2A
	v_rcp_f32_e32 v24, v22                                     // 00000000A084: 7E304516
	v_rcp_f32_e32 v25, v23                                     // 00000000A088: 7E324517
	v_mov_b32_e32 v42, v22                                     // 00000000A08C: 7E540316
	v_mov_b32_e32 v43, v22                                     // 00000000A090: 7E560316
	v_mov_b32_e32 v44, v23                                     // 00000000A094: 7E580317
	v_mov_b32_e32 v45, v23                                     // 00000000A098: 7E5A0317
	v_pk_mul_f32 v[168:169], v[42:43], v[168:169]              // 00000000A09C: D3B140A8 1803512A
	v_pk_mul_f32 v[170:171], v[42:43], v[170:171]              // 00000000A0A4: D3B140AA 1803552A
	v_cvt_i32_f32_e32 v168, v168                               // 00000000A0AC: 7F5011A8
	v_cvt_i32_f32_e32 v169, v169                               // 00000000A0B0: 7F5211A9
	v_cvt_i32_f32_e32 v170, v170                               // 00000000A0B4: 7F5411AA
	v_cvt_i32_f32_e32 v171, v171                               // 00000000A0B8: 7F5611AB
	v_perm_b32 v168, v169, v168, s53                           // 00000000A0BC: D1ED00A8 00D751A9
	v_perm_b32 v168, v170, v168, s54                           // 00000000A0C4: D1ED00A8 00DB51AA
	v_perm_b32 v168, v171, v168, s55                           // 00000000A0CC: D1ED00A8 00DF51AB
	v_pk_mul_f32 v[172:173], v[44:45], v[172:173]              // 00000000A0D4: D3B140AC 1803592C
	v_pk_mul_f32 v[174:175], v[44:45], v[174:175]              // 00000000A0DC: D3B140AE 18035D2C
	v_cvt_i32_f32_e32 v172, v172                               // 00000000A0E4: 7F5811AC
	v_cvt_i32_f32_e32 v173, v173                               // 00000000A0E8: 7F5A11AD
	v_cvt_i32_f32_e32 v174, v174                               // 00000000A0EC: 7F5C11AE
	v_cvt_i32_f32_e32 v175, v175                               // 00000000A0F0: 7F5E11AF
	v_perm_b32 v169, v173, v172, s53                           // 00000000A0F4: D1ED00A9 00D759AD
	v_perm_b32 v169, v174, v169, s54                           // 00000000A0FC: D1ED00A9 00DB53AE
	v_perm_b32 v169, v175, v169, s55                           // 00000000A104: D1ED00A9 00DF53AF
	v_pk_mul_f32 v[176:177], v[42:43], v[176:177]              // 00000000A10C: D3B140B0 1803612A
	v_pk_mul_f32 v[178:179], v[42:43], v[178:179]              // 00000000A114: D3B140B2 1803652A
	v_cvt_i32_f32_e32 v176, v176                               // 00000000A11C: 7F6011B0
	v_cvt_i32_f32_e32 v177, v177                               // 00000000A120: 7F6211B1
	v_cvt_i32_f32_e32 v178, v178                               // 00000000A124: 7F6411B2
	v_cvt_i32_f32_e32 v179, v179                               // 00000000A128: 7F6611B3
	v_perm_b32 v170, v177, v176, s53                           // 00000000A12C: D1ED00AA 00D761B1
	v_perm_b32 v170, v178, v170, s54                           // 00000000A134: D1ED00AA 00DB55B2
	v_perm_b32 v170, v179, v170, s55                           // 00000000A13C: D1ED00AA 00DF55B3
	v_pk_mul_f32 v[180:181], v[44:45], v[180:181]              // 00000000A144: D3B140B4 1803692C
	v_pk_mul_f32 v[182:183], v[44:45], v[182:183]              // 00000000A14C: D3B140B6 18036D2C
	v_cvt_i32_f32_e32 v180, v180                               // 00000000A154: 7F6811B4
	v_cvt_i32_f32_e32 v181, v181                               // 00000000A158: 7F6A11B5
	v_cvt_i32_f32_e32 v182, v182                               // 00000000A15C: 7F6C11B6
	v_cvt_i32_f32_e32 v183, v183                               // 00000000A160: 7F6E11B7
	v_perm_b32 v171, v181, v180, s53                           // 00000000A164: D1ED00AB 00D769B5
	v_perm_b32 v171, v182, v171, s54                           // 00000000A16C: D1ED00AB 00DB57B6
	v_perm_b32 v171, v183, v171, s55                           // 00000000A174: D1ED00AB 00DF57B7
	v_pk_mul_f32 v[184:185], v[42:43], v[184:185]              // 00000000A17C: D3B140B8 1803712A
	v_pk_mul_f32 v[186:187], v[42:43], v[186:187]              // 00000000A184: D3B140BA 1803752A
	v_cvt_i32_f32_e32 v184, v184                               // 00000000A18C: 7F7011B8
	v_cvt_i32_f32_e32 v185, v185                               // 00000000A190: 7F7211B9
	v_cvt_i32_f32_e32 v186, v186                               // 00000000A194: 7F7411BA
	v_cvt_i32_f32_e32 v187, v187                               // 00000000A198: 7F7611BB
	v_perm_b32 v172, v185, v184, s53                           // 00000000A19C: D1ED00AC 00D771B9
	v_perm_b32 v172, v186, v172, s54                           // 00000000A1A4: D1ED00AC 00DB59BA
	v_perm_b32 v172, v187, v172, s55                           // 00000000A1AC: D1ED00AC 00DF59BB
	v_pk_mul_f32 v[188:189], v[44:45], v[188:189]              // 00000000A1B4: D3B140BC 1803792C
	v_pk_mul_f32 v[190:191], v[44:45], v[190:191]              // 00000000A1BC: D3B140BE 18037D2C
	v_cvt_i32_f32_e32 v188, v188                               // 00000000A1C4: 7F7811BC
	v_cvt_i32_f32_e32 v189, v189                               // 00000000A1C8: 7F7A11BD
	v_cvt_i32_f32_e32 v190, v190                               // 00000000A1CC: 7F7C11BE
	v_cvt_i32_f32_e32 v191, v191                               // 00000000A1D0: 7F7E11BF
	v_perm_b32 v173, v189, v188, s53                           // 00000000A1D4: D1ED00AD 00D779BD
	v_perm_b32 v173, v190, v173, s54                           // 00000000A1DC: D1ED00AD 00DB5BBE
	v_perm_b32 v173, v191, v173, s55                           // 00000000A1E4: D1ED00AD 00DF5BBF
	v_pk_mul_f32 v[192:193], v[42:43], v[192:193]              // 00000000A1EC: D3B140C0 1803812A
	v_pk_mul_f32 v[194:195], v[42:43], v[194:195]              // 00000000A1F4: D3B140C2 1803852A
	v_cvt_i32_f32_e32 v192, v192                               // 00000000A1FC: 7F8011C0
	v_cvt_i32_f32_e32 v193, v193                               // 00000000A200: 7F8211C1
	v_cvt_i32_f32_e32 v194, v194                               // 00000000A204: 7F8411C2
	v_cvt_i32_f32_e32 v195, v195                               // 00000000A208: 7F8611C3
	v_perm_b32 v174, v193, v192, s53                           // 00000000A20C: D1ED00AE 00D781C1
	v_perm_b32 v174, v194, v174, s54                           // 00000000A214: D1ED00AE 00DB5DC2
	v_perm_b32 v174, v195, v174, s55                           // 00000000A21C: D1ED00AE 00DF5DC3
	v_pk_mul_f32 v[196:197], v[44:45], v[196:197]              // 00000000A224: D3B140C4 1803892C
	v_pk_mul_f32 v[198:199], v[44:45], v[198:199]              // 00000000A22C: D3B140C6 18038D2C
	v_cvt_i32_f32_e32 v196, v196                               // 00000000A234: 7F8811C4
	v_cvt_i32_f32_e32 v197, v197                               // 00000000A238: 7F8A11C5
	v_cvt_i32_f32_e32 v198, v198                               // 00000000A23C: 7F8C11C6
	v_cvt_i32_f32_e32 v199, v199                               // 00000000A240: 7F8E11C7
	v_perm_b32 v175, v197, v196, s53                           // 00000000A244: D1ED00AF 00D789C5
	v_perm_b32 v175, v198, v175, s54                           // 00000000A24C: D1ED00AF 00DB5FC6
	v_perm_b32 v175, v199, v175, s55                           // 00000000A254: D1ED00AF 00DF5FC7
	v_mfma_i32_16x16x32_i8 v[236:239], a[124:125], v[228:229], v[236:239]// 00000000A25C: D3D700EC 0FB3C97C
	v_mfma_i32_16x16x32_i8 v[236:239], a[126:127], v[230:231], v[236:239]// 00000000A264: D3D700EC 0FB3CD7E
	ds_write_b32 v12, v168 offset:2048                         // 00000000A26C: D81A0800 0000A80C
	ds_write_b32 v12, v169 offset:6144                         // 00000000A274: D81A1800 0000A90C
	v_cvt_f32_i32_e32 v232, v232                               // 00000000A27C: 7FD00BE8
	v_cvt_f32_i32_e32 v233, v233                               // 00000000A280: 7FD20BE9
	v_cvt_f32_i32_e32 v234, v234                               // 00000000A284: 7FD40BEA
	v_cvt_f32_i32_e32 v235, v235                               // 00000000A288: 7FD60BEB
	v_pk_fma_f32 v[80:81], v[232:233], v[240:241], v[80:81]    // 00000000A28C: D3B04050 1D43E1E8
	v_pk_fma_f32 v[82:83], v[234:235], v[240:241], v[82:83]    // 00000000A294: D3B04052 1D4BE1EA
	s_waitcnt vmcnt(16)                                        // 00000000A29C: BF8C4F70
	v_mfma_i32_16x16x32_i8 v[232:235], a[128:129], v[200:201], 0// 00000000A2A0: D3D700E8 0A039180
	buffer_load_dwordx4 a[48:51], v39, s[24:27], 0 offen       // 00000000A2A8: E05C1000 80863027
	v_mfma_i32_16x16x32_i8 v[232:235], a[130:131], v[202:203], v[232:235]// 00000000A2B0: D3D700E8 0FA39582
	ds_write_b32 v12, v170 offset:3072                         // 00000000A2B8: D81A0C00 0000AA0C
	ds_write_b32 v12, v171 offset:7168                         // 00000000A2C0: D81A1C00 0000AB0C
	v_mfma_i32_16x16x32_i8 v[232:235], a[132:133], v[204:205], v[232:235]// 00000000A2C8: D3D700E8 0FA39984
	v_mfma_i32_16x16x32_i8 v[232:235], a[134:135], v[206:207], v[232:235]// 00000000A2D0: D3D700E8 0FA39D86
	ds_write_b32 v12, v172 offset:4096                         // 00000000A2D8: D81A1000 0000AC0C
	ds_write_b32 v12, v173 offset:8192                         // 00000000A2E0: D81A2000 0000AD0C
	v_mfma_i32_16x16x32_i8 v[232:235], a[136:137], v[208:209], v[232:235]// 00000000A2E8: D3D700E8 0FA3A188
	buffer_load_dwordx4 a[52:55], v39, s[24:27], 0 offen offset:1024// 00000000A2F0: E05C1400 80863427
	v_mfma_i32_16x16x32_i8 v[232:235], a[138:139], v[210:211], v[232:235]// 00000000A2F8: D3D700E8 0FA3A58A
	ds_write_b32 v12, v174 offset:5120                         // 00000000A300: D81A1400 0000AE0C
	ds_write_b32 v12, v175 offset:9216                         // 00000000A308: D81A2400 0000AF0C
	v_mfma_i32_16x16x32_i8 v[232:235], a[140:141], v[212:213], v[232:235]// 00000000A310: D3D700E8 0FA3A98C
	v_mfma_i32_16x16x32_i8 v[232:235], a[142:143], v[214:215], v[232:235]// 00000000A318: D3D700E8 0FA3AD8E
	v_cvt_f32_i32_e32 v236, v236                               // 00000000A320: 7FD80BEC
	v_cvt_f32_i32_e32 v237, v237                               // 00000000A324: 7FDA0BED
	v_cvt_f32_i32_e32 v238, v238                               // 00000000A328: 7FDC0BEE
	v_cvt_f32_i32_e32 v239, v239                               // 00000000A32C: 7FDE0BEF
	v_pk_fma_f32 v[84:85], v[236:237], v[242:243], v[84:85]    // 00000000A330: D3B04054 1D53E5EC
	v_pk_fma_f32 v[86:87], v[238:239], v[242:243], v[86:87]    // 00000000A338: D3B04056 1D5BE5EE
	v_mfma_i32_16x16x32_i8 v[236:239], a[128:129], v[216:217], 0// 00000000A340: D3D700EC 0A03B180
	buffer_load_dwordx4 a[56:59], v39, s[24:27], 0 offen offset:2048// 00000000A348: E05C1800 80863827
	v_mfma_i32_16x16x32_i8 v[236:239], a[130:131], v[218:219], v[236:239]// 00000000A350: D3D700EC 0FB3B582
	v_mfma_i32_16x16x32_i8 v[236:239], a[132:133], v[220:221], v[236:239]// 00000000A358: D3D700EC 0FB3B984
	v_mfma_i32_16x16x32_i8 v[236:239], a[134:135], v[222:223], v[236:239]// 00000000A360: D3D700EC 0FB3BD86
	s_waitcnt lgkmcnt(0)                                       // 00000000A368: BF8CC07F
	s_barrier                                                  // 00000000A36C: BF8A0000
	v_mfma_i32_16x16x32_i8 v[236:239], a[136:137], v[224:225], v[236:239]// 00000000A370: D3D700EC 0FB3C188
	buffer_load_dwordx4 a[60:63], v39, s[24:27], 0 offen offset:3072// 00000000A378: E05C1C00 80863C27
	v_mfma_i32_16x16x32_i8 v[236:239], a[138:139], v[226:227], v[236:239]// 00000000A380: D3D700EC 0FB3C58A
	ds_read_b64 v[168:169], v13 offset:2048                    // 00000000A388: D8EC0800 A800000D
	ds_read_b64 v[170:171], v13 offset:2176                    // 00000000A390: D8EC0880 AA00000D
	v_mfma_i32_16x16x32_i8 v[236:239], a[140:141], v[228:229], v[236:239]// 00000000A398: D3D700EC 0FB3C98C
	v_mfma_i32_16x16x32_i8 v[236:239], a[142:143], v[230:231], v[236:239]// 00000000A3A0: D3D700EC 0FB3CD8E
	ds_read_b64 v[172:173], v13 offset:3072                    // 00000000A3A8: D8EC0C00 AC00000D
	ds_read_b64 v[174:175], v13 offset:3200                    // 00000000A3B0: D8EC0C80 AE00000D
	v_cvt_f32_i32_e32 v232, v232                               // 00000000A3B8: 7FD00BE8
	v_cvt_f32_i32_e32 v233, v233                               // 00000000A3BC: 7FD20BE9
	v_cvt_f32_i32_e32 v234, v234                               // 00000000A3C0: 7FD40BEA
	v_cvt_f32_i32_e32 v235, v235                               // 00000000A3C4: 7FD60BEB
	v_pk_fma_f32 v[88:89], v[232:233], v[240:241], v[88:89]    // 00000000A3C8: D3B04058 1D63E1E8
	v_pk_fma_f32 v[90:91], v[234:235], v[240:241], v[90:91]    // 00000000A3D0: D3B0405A 1D6BE1EA
	s_waitcnt vmcnt(16)                                        // 00000000A3D8: BF8C4F70
	v_mfma_i32_16x16x32_i8 v[232:235], a[144:145], v[200:201], 0// 00000000A3DC: D3D700E8 0A039190
	buffer_load_dwordx4 a[64:67], v40, s[24:27], 0 offen       // 00000000A3E4: E05C1000 80864028
	v_mfma_i32_16x16x32_i8 v[232:235], a[146:147], v[202:203], v[232:235]// 00000000A3EC: D3D700E8 0FA39592
	ds_read_b64 v[176:177], v13 offset:4096                    // 00000000A3F4: D8EC1000 B000000D
	ds_read_b64 v[178:179], v13 offset:4224                    // 00000000A3FC: D8EC1080 B200000D
	v_mfma_i32_16x16x32_i8 v[232:235], a[148:149], v[204:205], v[232:235]// 00000000A404: D3D700E8 0FA39994
	v_mfma_i32_16x16x32_i8 v[232:235], a[150:151], v[206:207], v[232:235]// 00000000A40C: D3D700E8 0FA39D96
	ds_read_b64 v[180:181], v13 offset:5120                    // 00000000A414: D8EC1400 B400000D
	ds_read_b64 v[182:183], v13 offset:5248                    // 00000000A41C: D8EC1480 B600000D
	v_mfma_i32_16x16x32_i8 v[232:235], a[152:153], v[208:209], v[232:235]// 00000000A424: D3D700E8 0FA3A198
	buffer_load_dwordx4 a[68:71], v40, s[24:27], 0 offen offset:1024// 00000000A42C: E05C1400 80864428
	v_mfma_i32_16x16x32_i8 v[232:235], a[154:155], v[210:211], v[232:235]// 00000000A434: D3D700E8 0FA3A59A
	ds_read_b64 v[184:185], v13 offset:6144                    // 00000000A43C: D8EC1800 B800000D
	ds_read_b64 v[186:187], v13 offset:6272                    // 00000000A444: D8EC1880 BA00000D
	v_mfma_i32_16x16x32_i8 v[232:235], a[156:157], v[212:213], v[232:235]// 00000000A44C: D3D700E8 0FA3A99C
	v_mfma_i32_16x16x32_i8 v[232:235], a[158:159], v[214:215], v[232:235]// 00000000A454: D3D700E8 0FA3AD9E
	ds_read_b64 v[188:189], v13 offset:7168                    // 00000000A45C: D8EC1C00 BC00000D
	ds_read_b64 v[190:191], v13 offset:7296                    // 00000000A464: D8EC1C80 BE00000D
	v_cvt_f32_i32_e32 v236, v236                               // 00000000A46C: 7FD80BEC
	v_cvt_f32_i32_e32 v237, v237                               // 00000000A470: 7FDA0BED
	v_cvt_f32_i32_e32 v238, v238                               // 00000000A474: 7FDC0BEE
	v_cvt_f32_i32_e32 v239, v239                               // 00000000A478: 7FDE0BEF
	v_pk_fma_f32 v[92:93], v[236:237], v[242:243], v[92:93]    // 00000000A47C: D3B0405C 1D73E5EC
	v_pk_fma_f32 v[94:95], v[238:239], v[242:243], v[94:95]    // 00000000A484: D3B0405E 1D7BE5EE
	v_mfma_i32_16x16x32_i8 v[236:239], a[144:145], v[216:217], 0// 00000000A48C: D3D700EC 0A03B190
	buffer_load_dwordx4 a[72:75], v40, s[24:27], 0 offen offset:2048// 00000000A494: E05C1800 80864828
	v_mfma_i32_16x16x32_i8 v[236:239], a[146:147], v[218:219], v[236:239]// 00000000A49C: D3D700EC 0FB3B592
	ds_read_b64 v[192:193], v13 offset:8192                    // 00000000A4A4: D8EC2000 C000000D
	ds_read_b64 v[194:195], v13 offset:8320                    // 00000000A4AC: D8EC2080 C200000D
	v_mfma_i32_16x16x32_i8 v[236:239], a[148:149], v[220:221], v[236:239]// 00000000A4B4: D3D700EC 0FB3B994
	v_mfma_i32_16x16x32_i8 v[236:239], a[150:151], v[222:223], v[236:239]// 00000000A4BC: D3D700EC 0FB3BD96
	ds_read_b64 v[196:197], v13 offset:9216                    // 00000000A4C4: D8EC2400 C400000D
	ds_read_b64 v[198:199], v13 offset:9344                    // 00000000A4CC: D8EC2480 C600000D
	v_mfma_i32_16x16x32_i8 v[236:239], a[152:153], v[224:225], v[236:239]// 00000000A4D4: D3D700EC 0FB3C198
	buffer_load_dwordx4 a[76:79], v40, s[24:27], 0 offen offset:3072// 00000000A4DC: E05C1C00 80864C28
	v_mfma_i32_16x16x32_i8 v[236:239], a[154:155], v[226:227], v[236:239]// 00000000A4E4: D3D700EC 0FB3C59A
	v_mfma_i32_16x16x32_i8 v[236:239], a[156:157], v[228:229], v[236:239]// 00000000A4EC: D3D700EC 0FB3C99C
	v_mfma_i32_16x16x32_i8 v[236:239], a[158:159], v[230:231], v[236:239]// 00000000A4F4: D3D700EC 0FB3CD9E
	v_cvt_f32_i32_e32 v232, v232                               // 00000000A4FC: 7FD00BE8
	v_cvt_f32_i32_e32 v233, v233                               // 00000000A500: 7FD20BE9
	v_cvt_f32_i32_e32 v234, v234                               // 00000000A504: 7FD40BEA
	v_cvt_f32_i32_e32 v235, v235                               // 00000000A508: 7FD60BEB
	v_pk_fma_f32 v[96:97], v[232:233], v[240:241], v[96:97]    // 00000000A50C: D3B04060 1D83E1E8
	v_pk_fma_f32 v[98:99], v[234:235], v[240:241], v[98:99]    // 00000000A514: D3B04062 1D8BE1EA
	v_cvt_f32_i32_e32 v236, v236                               // 00000000A51C: 7FD80BEC
	v_cvt_f32_i32_e32 v237, v237                               // 00000000A520: 7FDA0BED
	v_cvt_f32_i32_e32 v238, v238                               // 00000000A524: 7FDC0BEE
	v_cvt_f32_i32_e32 v239, v239                               // 00000000A528: 7FDE0BEF
	v_pk_fma_f32 v[100:101], v[236:237], v[242:243], v[100:101]// 00000000A52C: D3B04064 1D93E5EC
	v_pk_fma_f32 v[102:103], v[238:239], v[242:243], v[102:103]// 00000000A534: D3B04066 1D9BE5EE
	s_add_u32 s60, 0x200, s80                                  // 00000000A53C: 803C50FF 00000200
	s_cmp_lt_u32 s60, s81                                      // 00000000A544: BF0A513C
	s_cselect_b32 s57, s57, 0                                  // 00000000A548: 85398039
	s_cselect_b32 s91, s91, 0                                  // 00000000A54C: 855B805B
	s_add_u32 s60, 0x200, s80                                  // 00000000A550: 803C50FF 00000200
	s_cmp_lt_u32 s60, s81                                      // 00000000A558: BF0A513C
	s_cselect_b32 s58, s58, 0                                  // 00000000A55C: 853A803A
	s_add_u32 s20, s57, s20                                    // 00000000A560: 80141439
	s_addc_u32 s21, 0, s21                                     // 00000000A564: 82151580
	s_add_u32 s28, s91, s28                                    // 00000000A568: 801C1C5B
	s_addc_u32 s29, 0, s29                                     // 00000000A56C: 821D1D80
	s_add_u32 s24, s58, s24                                    // 00000000A570: 8018183A
	s_addc_u32 s25, 0, s25                                     // 00000000A574: 82191980
	s_add_u32 s92, s90, s92                                    // 00000000A578: 805C5C5A
	s_addc_u32 s93, 0, s93                                     // 00000000A57C: 825D5D80
	s_addk_i32 s80, 0x100                                      // 00000000A580: B7500100
	s_cmp_lt_i32 s80, s81                                      // 00000000A584: BF045150
	s_cbranch_scc0 label_1EA4                                  // 00000000A588: BF840001
	s_branch label_165F                                        // 00000000A58C: BF82F7BB

000000000000a590 <label_1EA4>:
	s_mov_b32 s20, 0                                           // 00000000A590: BE940080
	s_cmp_lt_u32 s89, s66                                      // 00000000A594: BF0A4259
	s_cselect_b32 s60, 0, 1                                    // 00000000A598: 853C8180
	s_lshl1_add_u32 s20, s20, s60                              // 00000000A59C: 97143C14
	s_cmp_lt_u32 s88, s66                                      // 00000000A5A0: BF0A4258
	s_cselect_b32 s60, 0, 1                                    // 00000000A5A4: 853C8180
	s_lshl1_add_u32 s20, s20, s60                              // 00000000A5A8: 97143C14
	s_cmp_lt_u32 s87, s66                                      // 00000000A5AC: BF0A4257
	s_cselect_b32 s60, 0, 1                                    // 00000000A5B0: 853C8180
	s_lshl1_add_u32 s20, s20, s60                              // 00000000A5B4: 97143C14
	s_cmp_lt_u32 s86, s66                                      // 00000000A5B8: BF0A4256
	s_cselect_b32 s60, 0, 1                                    // 00000000A5BC: 853C8180
	s_lshl1_add_u32 s20, s20, s60                              // 00000000A5C0: 97143C14
	s_cmp_lt_u32 s85, s66                                      // 00000000A5C4: BF0A4255
	s_cselect_b32 s60, 0, 1                                    // 00000000A5C8: 853C8180
	s_lshl1_add_u32 s20, s20, s60                              // 00000000A5CC: 97143C14
	s_cmp_lt_u32 s84, s66                                      // 00000000A5D0: BF0A4254
	s_cselect_b32 s60, 0, 1                                    // 00000000A5D4: 853C8180
	s_lshl1_add_u32 s20, s20, s60                              // 00000000A5D8: 97143C14
	s_cmp_lt_u32 s83, s66                                      // 00000000A5DC: BF0A4253
	s_cselect_b32 s60, 0, 1                                    // 00000000A5E0: 853C8180
	s_lshl1_add_u32 s20, s20, s60                              // 00000000A5E4: 97143C14
	s_cmp_lt_u32 s82, s66                                      // 00000000A5E8: BF0A4252
	s_cselect_b32 s60, 0, 1                                    // 00000000A5EC: 853C8180
	s_lshl1_add_u32 s20, s20, s60                              // 00000000A5F0: 97143C14
	v_mov_b32_e32 v54, 0xbfcc4231                              // 00000000A5F4: 7E6C02FF BFCC4231
	v_mov_b32_e32 v55, 0xbfcc4231                              // 00000000A5FC: 7E6E02FF BFCC4231
	v_mov_b32_e32 v51, 0xffff0000                              // 00000000A604: 7E6602FF FFFF0000
	v_mov_b32_e32 v52, 0x7fff0000                              // 00000000A60C: 7E6802FF 7FFF0000
	v_mov_b32_e32 v53, 0x7fff                                  // 00000000A614: 7E6A02FF 00007FFF
	s_mul_i32 s60, s5, 16                                      // 00000000A61C: 923C9005
	s_mul_i32 s60, s60, s70                                    // 00000000A620: 923C463C
	v_lshlrev_b32_e32 v46, 4, v0                               // 00000000A624: 245C0084
	v_add_u32_e32 v46, s60, v46                                // 00000000A628: 685C5C3C
	s_mul_i32 s60, 64, s70                                     // 00000000A62C: 923C46C0
	v_add_u32_e32 v47, s60, v46                                // 00000000A630: 685E5C3C
	v_add_u32_e32 v48, s60, v47                                // 00000000A634: 68605E3C
	v_add_u32_e32 v49, s60, v48                                // 00000000A638: 6862603C
	v_lshrrev_b32_e32 v42, 4, v0                               // 00000000A63C: 20540084
	v_mul_i32_i24_e32 v3, 34, v42                              // 00000000A640: 0C0654A2
	v_and_b32_e32 v42, 15, v0                                  // 00000000A644: 2654008F
	v_mul_i32_i24_e32 v43, 2, v42                              // 00000000A648: 0C565482
	v_add_u32_e32 v3, v43, v3                                  // 00000000A64C: 6806072B
	s_mul_i32 s60, s5, 0x88                                    // 00000000A650: 923CFF05 00000088
	v_add_u32_e32 v3, s60, v3                                  // 00000000A658: 6806063C
	v_lshlrev_b32_e32 v3, 2, v3                                // 00000000A65C: 24060682
	v_lshrrev_b32_e32 v42, 1, v0                               // 00000000A660: 20540081
	v_mul_i32_i24_e32 v4, 34, v42                              // 00000000A664: 0C0854A2
	v_and_b32_e32 v43, 1, v0                                   // 00000000A668: 26560081
	v_add_u32_e32 v4, v43, v4                                  // 00000000A66C: 6808092B
	s_mul_i32 s60, s5, 2                                       // 00000000A670: 923C8205
	v_add_u32_e32 v4, s60, v4                                  // 00000000A674: 6808083C
	v_lshlrev_b32_e32 v4, 2, v4                                // 00000000A678: 24080882
	v_mul_f32_dpp v128, v16, v128 row_newbcast:0 row_mask:0xf bank_mask:0xf// 00000000A67C: 0B0100FA FF015010
	v_mul_f32_dpp v129, v16, v129 row_newbcast:1 row_mask:0xf bank_mask:0xf// 00000000A684: 0B0302FA FF015110
	v_mul_f32_dpp v130, v16, v130 row_newbcast:2 row_mask:0xf bank_mask:0xf// 00000000A68C: 0B0504FA FF015210
	v_mul_f32_dpp v131, v16, v131 row_newbcast:3 row_mask:0xf bank_mask:0xf// 00000000A694: 0B0706FA FF015310
	v_mul_f32_dpp v132, v16, v132 row_newbcast:0 row_mask:0xf bank_mask:0xf// 00000000A69C: 0B0908FA FF015010
	v_mul_f32_dpp v133, v16, v133 row_newbcast:1 row_mask:0xf bank_mask:0xf// 00000000A6A4: 0B0B0AFA FF015110
	v_mul_f32_dpp v134, v16, v134 row_newbcast:2 row_mask:0xf bank_mask:0xf// 00000000A6AC: 0B0D0CFA FF015210
	v_mul_f32_dpp v135, v16, v135 row_newbcast:3 row_mask:0xf bank_mask:0xf// 00000000A6B4: 0B0F0EFA FF015310
	v_mul_f32_dpp v136, v16, v136 row_newbcast:4 row_mask:0xf bank_mask:0xf// 00000000A6BC: 0B1110FA FF015410
	v_mul_f32_dpp v137, v16, v137 row_newbcast:5 row_mask:0xf bank_mask:0xf// 00000000A6C4: 0B1312FA FF015510
	v_mul_f32_dpp v138, v16, v138 row_newbcast:6 row_mask:0xf bank_mask:0xf// 00000000A6CC: 0B1514FA FF015610
	v_mul_f32_dpp v139, v16, v139 row_newbcast:7 row_mask:0xf bank_mask:0xf// 00000000A6D4: 0B1716FA FF015710
	v_mul_f32_dpp v140, v16, v140 row_newbcast:4 row_mask:0xf bank_mask:0xf// 00000000A6DC: 0B1918FA FF015410
	v_mul_f32_dpp v141, v16, v141 row_newbcast:5 row_mask:0xf bank_mask:0xf// 00000000A6E4: 0B1B1AFA FF015510
	v_mul_f32_dpp v142, v16, v142 row_newbcast:6 row_mask:0xf bank_mask:0xf// 00000000A6EC: 0B1D1CFA FF015610
	v_mul_f32_dpp v143, v16, v143 row_newbcast:7 row_mask:0xf bank_mask:0xf// 00000000A6F4: 0B1F1EFA FF015710
	v_mul_f32_dpp v144, v16, v144 row_newbcast:8 row_mask:0xf bank_mask:0xf// 00000000A6FC: 0B2120FA FF015810
	v_mul_f32_dpp v145, v16, v145 row_newbcast:9 row_mask:0xf bank_mask:0xf// 00000000A704: 0B2322FA FF015910
	v_mul_f32_dpp v146, v16, v146 row_newbcast:10 row_mask:0xf bank_mask:0xf// 00000000A70C: 0B2524FA FF015A10
	v_mul_f32_dpp v147, v16, v147 row_newbcast:11 row_mask:0xf bank_mask:0xf// 00000000A714: 0B2726FA FF015B10
	v_mul_f32_dpp v148, v16, v148 row_newbcast:8 row_mask:0xf bank_mask:0xf// 00000000A71C: 0B2928FA FF015810
	v_mul_f32_dpp v149, v16, v149 row_newbcast:9 row_mask:0xf bank_mask:0xf// 00000000A724: 0B2B2AFA FF015910
	v_mul_f32_dpp v150, v16, v150 row_newbcast:10 row_mask:0xf bank_mask:0xf// 00000000A72C: 0B2D2CFA FF015A10
	v_mul_f32_dpp v151, v16, v151 row_newbcast:11 row_mask:0xf bank_mask:0xf// 00000000A734: 0B2F2EFA FF015B10
	v_mul_f32_dpp v152, v16, v152 row_newbcast:12 row_mask:0xf bank_mask:0xf// 00000000A73C: 0B3130FA FF015C10
	v_mul_f32_dpp v153, v16, v153 row_newbcast:13 row_mask:0xf bank_mask:0xf// 00000000A744: 0B3332FA FF015D10
	v_mul_f32_dpp v154, v16, v154 row_newbcast:14 row_mask:0xf bank_mask:0xf// 00000000A74C: 0B3534FA FF015E10
	v_mul_f32_dpp v155, v16, v155 row_newbcast:15 row_mask:0xf bank_mask:0xf// 00000000A754: 0B3736FA FF015F10
	v_mul_f32_dpp v156, v16, v156 row_newbcast:12 row_mask:0xf bank_mask:0xf// 00000000A75C: 0B3938FA FF015C10
	v_mul_f32_dpp v157, v16, v157 row_newbcast:13 row_mask:0xf bank_mask:0xf// 00000000A764: 0B3B3AFA FF015D10
	v_mul_f32_dpp v158, v16, v158 row_newbcast:14 row_mask:0xf bank_mask:0xf// 00000000A76C: 0B3D3CFA FF015E10
	v_mul_f32_dpp v159, v16, v159 row_newbcast:15 row_mask:0xf bank_mask:0xf// 00000000A774: 0B3F3EFA FF015F10
	v_mul_f32_dpp v160, v17, v160 row_newbcast:0 row_mask:0xf bank_mask:0xf// 00000000A77C: 0B4140FA FF015011
	v_mul_f32_dpp v161, v17, v161 row_newbcast:1 row_mask:0xf bank_mask:0xf// 00000000A784: 0B4342FA FF015111
	v_mul_f32_dpp v162, v17, v162 row_newbcast:2 row_mask:0xf bank_mask:0xf// 00000000A78C: 0B4544FA FF015211
	v_mul_f32_dpp v163, v17, v163 row_newbcast:3 row_mask:0xf bank_mask:0xf// 00000000A794: 0B4746FA FF015311
	v_mul_f32_dpp v164, v17, v164 row_newbcast:0 row_mask:0xf bank_mask:0xf// 00000000A79C: 0B4948FA FF015011
	v_mul_f32_dpp v165, v17, v165 row_newbcast:1 row_mask:0xf bank_mask:0xf// 00000000A7A4: 0B4B4AFA FF015111
	v_mul_f32_dpp v166, v17, v166 row_newbcast:2 row_mask:0xf bank_mask:0xf// 00000000A7AC: 0B4D4CFA FF015211
	v_mul_f32_dpp v167, v17, v167 row_newbcast:3 row_mask:0xf bank_mask:0xf// 00000000A7B4: 0B4F4EFA FF015311
	v_mul_f32_dpp v64, v8, v64 row_newbcast:0 row_mask:0xf bank_mask:0xf// 00000000A7BC: 0A8080FA FF015008
	v_mul_f32_dpp v65, v8, v65 row_newbcast:1 row_mask:0xf bank_mask:0xf// 00000000A7C4: 0A8282FA FF015108
	v_mul_f32_dpp v66, v8, v66 row_newbcast:2 row_mask:0xf bank_mask:0xf// 00000000A7CC: 0A8484FA FF015208
	v_mul_f32_dpp v67, v8, v67 row_newbcast:3 row_mask:0xf bank_mask:0xf// 00000000A7D4: 0A8686FA FF015308
	v_mul_f32_dpp v68, v8, v68 row_newbcast:0 row_mask:0xf bank_mask:0xf// 00000000A7DC: 0A8888FA FF015008
	v_mul_f32_dpp v69, v8, v69 row_newbcast:1 row_mask:0xf bank_mask:0xf// 00000000A7E4: 0A8A8AFA FF015108
	v_mul_f32_dpp v70, v8, v70 row_newbcast:2 row_mask:0xf bank_mask:0xf// 00000000A7EC: 0A8C8CFA FF015208
	v_mul_f32_dpp v71, v8, v71 row_newbcast:3 row_mask:0xf bank_mask:0xf// 00000000A7F4: 0A8E8EFA FF015308
	v_mul_f32_dpp v72, v8, v72 row_newbcast:4 row_mask:0xf bank_mask:0xf// 00000000A7FC: 0A9090FA FF015408
	v_mul_f32_dpp v73, v8, v73 row_newbcast:5 row_mask:0xf bank_mask:0xf// 00000000A804: 0A9292FA FF015508
	v_mul_f32_dpp v74, v8, v74 row_newbcast:6 row_mask:0xf bank_mask:0xf// 00000000A80C: 0A9494FA FF015608
	v_mul_f32_dpp v75, v8, v75 row_newbcast:7 row_mask:0xf bank_mask:0xf// 00000000A814: 0A9696FA FF015708
	v_mul_f32_dpp v76, v8, v76 row_newbcast:4 row_mask:0xf bank_mask:0xf// 00000000A81C: 0A9898FA FF015408
	v_mul_f32_dpp v77, v8, v77 row_newbcast:5 row_mask:0xf bank_mask:0xf// 00000000A824: 0A9A9AFA FF015508
	v_mul_f32_dpp v78, v8, v78 row_newbcast:6 row_mask:0xf bank_mask:0xf// 00000000A82C: 0A9C9CFA FF015608
	v_mul_f32_dpp v79, v8, v79 row_newbcast:7 row_mask:0xf bank_mask:0xf// 00000000A834: 0A9E9EFA FF015708
	v_mul_f32_dpp v80, v8, v80 row_newbcast:8 row_mask:0xf bank_mask:0xf// 00000000A83C: 0AA0A0FA FF015808
	v_mul_f32_dpp v81, v8, v81 row_newbcast:9 row_mask:0xf bank_mask:0xf// 00000000A844: 0AA2A2FA FF015908
	v_mul_f32_dpp v82, v8, v82 row_newbcast:10 row_mask:0xf bank_mask:0xf// 00000000A84C: 0AA4A4FA FF015A08
	v_mul_f32_dpp v83, v8, v83 row_newbcast:11 row_mask:0xf bank_mask:0xf// 00000000A854: 0AA6A6FA FF015B08
	v_mul_f32_dpp v84, v8, v84 row_newbcast:8 row_mask:0xf bank_mask:0xf// 00000000A85C: 0AA8A8FA FF015808
	v_mul_f32_dpp v85, v8, v85 row_newbcast:9 row_mask:0xf bank_mask:0xf// 00000000A864: 0AAAAAFA FF015908
	v_mul_f32_dpp v86, v8, v86 row_newbcast:10 row_mask:0xf bank_mask:0xf// 00000000A86C: 0AACACFA FF015A08
	v_mul_f32_dpp v87, v8, v87 row_newbcast:11 row_mask:0xf bank_mask:0xf// 00000000A874: 0AAEAEFA FF015B08
	v_mul_f32_dpp v88, v8, v88 row_newbcast:12 row_mask:0xf bank_mask:0xf// 00000000A87C: 0AB0B0FA FF015C08
	v_mul_f32_dpp v89, v8, v89 row_newbcast:13 row_mask:0xf bank_mask:0xf// 00000000A884: 0AB2B2FA FF015D08
	v_mul_f32_dpp v90, v8, v90 row_newbcast:14 row_mask:0xf bank_mask:0xf// 00000000A88C: 0AB4B4FA FF015E08
	v_mul_f32_dpp v91, v8, v91 row_newbcast:15 row_mask:0xf bank_mask:0xf// 00000000A894: 0AB6B6FA FF015F08
	v_mul_f32_dpp v92, v8, v92 row_newbcast:12 row_mask:0xf bank_mask:0xf// 00000000A89C: 0AB8B8FA FF015C08
	v_mul_f32_dpp v93, v8, v93 row_newbcast:13 row_mask:0xf bank_mask:0xf// 00000000A8A4: 0ABABAFA FF015D08
	v_mul_f32_dpp v94, v8, v94 row_newbcast:14 row_mask:0xf bank_mask:0xf// 00000000A8AC: 0ABCBCFA FF015E08
	v_mul_f32_dpp v95, v8, v95 row_newbcast:15 row_mask:0xf bank_mask:0xf// 00000000A8B4: 0ABEBEFA FF015F08
	v_mul_f32_dpp v96, v9, v96 row_newbcast:0 row_mask:0xf bank_mask:0xf// 00000000A8BC: 0AC0C0FA FF015009
	v_mul_f32_dpp v97, v9, v97 row_newbcast:1 row_mask:0xf bank_mask:0xf// 00000000A8C4: 0AC2C2FA FF015109
	v_mul_f32_dpp v98, v9, v98 row_newbcast:2 row_mask:0xf bank_mask:0xf// 00000000A8CC: 0AC4C4FA FF015209
	v_mul_f32_dpp v99, v9, v99 row_newbcast:3 row_mask:0xf bank_mask:0xf// 00000000A8D4: 0AC6C6FA FF015309
	v_mul_f32_dpp v100, v9, v100 row_newbcast:0 row_mask:0xf bank_mask:0xf// 00000000A8DC: 0AC8C8FA FF015009
	v_mul_f32_dpp v101, v9, v101 row_newbcast:1 row_mask:0xf bank_mask:0xf// 00000000A8E4: 0ACACAFA FF015109
	v_mul_f32_dpp v102, v9, v102 row_newbcast:2 row_mask:0xf bank_mask:0xf// 00000000A8EC: 0ACCCCFA FF015209
	v_mul_f32_dpp v103, v9, v103 row_newbcast:3 row_mask:0xf bank_mask:0xf// 00000000A8F4: 0ACECEFA FF015309
	s_waitcnt vmcnt(16)                                        // 00000000A8FC: BF8C4F70
	buffer_load_dwordx4 a[0:3], v46, s[12:15], 0 offen         // 00000000A900: E05C1000 8083002E
	v_mul_f32_e64 v42, -v128, s6                               // 00000000A908: D105002A 20000D80
	v_mul_f32_e64 v43, -v129, s6                               // 00000000A910: D105002B 20000D81
	v_mul_f32_e64 v44, -v130, s6                               // 00000000A918: D105002C 20000D82
	v_mul_f32_e64 v45, -v131, s6                               // 00000000A920: D105002D 20000D83
	v_exp_f32_e32 v42, v42                                     // 00000000A928: 7E54412A
	v_exp_f32_e32 v43, v43                                     // 00000000A92C: 7E56412B
	v_exp_f32_e32 v44, v44                                     // 00000000A930: 7E58412C
	v_exp_f32_e32 v45, v45                                     // 00000000A934: 7E5A412D
	buffer_load_dwordx4 a[4:7], v47, s[12:15], 0 offen         // 00000000A938: E05C1000 8083042F
	v_add_f32_e64 v42, v42, 1.0                                // 00000000A940: D101002A 0001E52A
	v_add_f32_e64 v43, v43, 1.0                                // 00000000A948: D101002B 0001E52B
	v_add_f32_e64 v44, v44, 1.0                                // 00000000A950: D101002C 0001E52C
	v_add_f32_e64 v45, v45, 1.0                                // 00000000A958: D101002D 0001E52D
	v_rcp_f32_e32 v42, v42                                     // 00000000A960: 7E54452A
	v_rcp_f32_e32 v43, v43                                     // 00000000A964: 7E56452B
	v_rcp_f32_e32 v44, v44                                     // 00000000A968: 7E58452C
	v_rcp_f32_e32 v45, v45                                     // 00000000A96C: 7E5A452D
	v_pk_mul_f32 v[128:129], v[128:129], v[42:43]              // 00000000A970: D3B14080 18025580
	v_pk_mul_f32 v[130:131], v[130:131], v[44:45]              // 00000000A978: D3B14082 18025982
	v_pk_mul_f32 v[128:129], v[128:129], v[64:65]              // 00000000A980: D3B14080 18028180
	v_pk_mul_f32 v[130:131], v[130:131], v[66:67]              // 00000000A988: D3B14082 18028582
	buffer_load_dwordx4 a[8:11], v48, s[12:15], 0 offen        // 00000000A990: E05C1000 80830830
	v_mul_f32_e64 v42, -v132, s6                               // 00000000A998: D105002A 20000D84
	v_mul_f32_e64 v43, -v133, s6                               // 00000000A9A0: D105002B 20000D85
	v_mul_f32_e64 v44, -v134, s6                               // 00000000A9A8: D105002C 20000D86
	v_mul_f32_e64 v45, -v135, s6                               // 00000000A9B0: D105002D 20000D87
	v_exp_f32_e32 v42, v42                                     // 00000000A9B8: 7E54412A
	v_exp_f32_e32 v43, v43                                     // 00000000A9BC: 7E56412B
	v_exp_f32_e32 v44, v44                                     // 00000000A9C0: 7E58412C
	v_exp_f32_e32 v45, v45                                     // 00000000A9C4: 7E5A412D
	buffer_load_dwordx4 a[12:15], v49, s[12:15], 0 offen       // 00000000A9C8: E05C1000 80830C31
	s_add_u32 s12, s78, s12                                    // 00000000A9D0: 800C0C4E
	s_addc_u32 s13, 0, s13                                     // 00000000A9D4: 820D0D80
	v_add_f32_e64 v42, v42, 1.0                                // 00000000A9D8: D101002A 0001E52A
	v_add_f32_e64 v43, v43, 1.0                                // 00000000A9E0: D101002B 0001E52B
	v_add_f32_e64 v44, v44, 1.0                                // 00000000A9E8: D101002C 0001E52C
	v_add_f32_e64 v45, v45, 1.0                                // 00000000A9F0: D101002D 0001E52D
	v_rcp_f32_e32 v42, v42                                     // 00000000A9F8: 7E54452A
	v_rcp_f32_e32 v43, v43                                     // 00000000A9FC: 7E56452B
	v_rcp_f32_e32 v44, v44                                     // 00000000AA00: 7E58452C
	v_rcp_f32_e32 v45, v45                                     // 00000000AA04: 7E5A452D
	v_pk_mul_f32 v[132:133], v[132:133], v[42:43]              // 00000000AA08: D3B14084 18025584
	v_pk_mul_f32 v[134:135], v[134:135], v[44:45]              // 00000000AA10: D3B14086 18025986
	v_pk_mul_f32 v[132:133], v[132:133], v[68:69]              // 00000000AA18: D3B14084 18028984
	v_pk_mul_f32 v[134:135], v[134:135], v[70:71]              // 00000000AA20: D3B14086 18028D86
	s_waitcnt vmcnt(16)                                        // 00000000AA28: BF8C4F70
	buffer_load_dwordx4 a[16:19], v46, s[12:15], 0 offen       // 00000000AA2C: E05C1000 8083102E
	v_mul_f32_e64 v42, -v136, s6                               // 00000000AA34: D105002A 20000D88
	v_mul_f32_e64 v43, -v137, s6                               // 00000000AA3C: D105002B 20000D89
	v_mul_f32_e64 v44, -v138, s6                               // 00000000AA44: D105002C 20000D8A
	v_mul_f32_e64 v45, -v139, s6                               // 00000000AA4C: D105002D 20000D8B
	v_exp_f32_e32 v42, v42                                     // 00000000AA54: 7E54412A
	v_exp_f32_e32 v43, v43                                     // 00000000AA58: 7E56412B
	v_exp_f32_e32 v44, v44                                     // 00000000AA5C: 7E58412C
	v_exp_f32_e32 v45, v45                                     // 00000000AA60: 7E5A412D
	buffer_load_dwordx4 a[20:23], v47, s[12:15], 0 offen       // 00000000AA64: E05C1000 8083142F
	v_add_f32_e64 v42, v42, 1.0                                // 00000000AA6C: D101002A 0001E52A
	v_add_f32_e64 v43, v43, 1.0                                // 00000000AA74: D101002B 0001E52B
	v_add_f32_e64 v44, v44, 1.0                                // 00000000AA7C: D101002C 0001E52C
	v_add_f32_e64 v45, v45, 1.0                                // 00000000AA84: D101002D 0001E52D
	v_rcp_f32_e32 v42, v42                                     // 00000000AA8C: 7E54452A
	v_rcp_f32_e32 v43, v43                                     // 00000000AA90: 7E56452B
	v_rcp_f32_e32 v44, v44                                     // 00000000AA94: 7E58452C
	v_rcp_f32_e32 v45, v45                                     // 00000000AA98: 7E5A452D
	v_pk_mul_f32 v[136:137], v[136:137], v[42:43]              // 00000000AA9C: D3B14088 18025588
	v_pk_mul_f32 v[138:139], v[138:139], v[44:45]              // 00000000AAA4: D3B1408A 1802598A
	v_pk_mul_f32 v[136:137], v[136:137], v[72:73]              // 00000000AAAC: D3B14088 18029188
	v_pk_mul_f32 v[138:139], v[138:139], v[74:75]              // 00000000AAB4: D3B1408A 1802958A
	buffer_load_dwordx4 a[24:27], v48, s[12:15], 0 offen       // 00000000AABC: E05C1000 80831830
	v_mul_f32_e64 v42, -v140, s6                               // 00000000AAC4: D105002A 20000D8C
	v_mul_f32_e64 v43, -v141, s6                               // 00000000AACC: D105002B 20000D8D
	v_mul_f32_e64 v44, -v142, s6                               // 00000000AAD4: D105002C 20000D8E
	v_mul_f32_e64 v45, -v143, s6                               // 00000000AADC: D105002D 20000D8F
	v_exp_f32_e32 v42, v42                                     // 00000000AAE4: 7E54412A
	v_exp_f32_e32 v43, v43                                     // 00000000AAE8: 7E56412B
	v_exp_f32_e32 v44, v44                                     // 00000000AAEC: 7E58412C
	v_exp_f32_e32 v45, v45                                     // 00000000AAF0: 7E5A412D
	buffer_load_dwordx4 a[28:31], v49, s[12:15], 0 offen       // 00000000AAF4: E05C1000 80831C31
	s_add_u32 s12, s78, s12                                    // 00000000AAFC: 800C0C4E
	s_addc_u32 s13, 0, s13                                     // 00000000AB00: 820D0D80
	v_add_f32_e64 v42, v42, 1.0                                // 00000000AB04: D101002A 0001E52A
	v_add_f32_e64 v43, v43, 1.0                                // 00000000AB0C: D101002B 0001E52B
	v_add_f32_e64 v44, v44, 1.0                                // 00000000AB14: D101002C 0001E52C
	v_add_f32_e64 v45, v45, 1.0                                // 00000000AB1C: D101002D 0001E52D
	v_rcp_f32_e32 v42, v42                                     // 00000000AB24: 7E54452A
	v_rcp_f32_e32 v43, v43                                     // 00000000AB28: 7E56452B
	v_rcp_f32_e32 v44, v44                                     // 00000000AB2C: 7E58452C
	v_rcp_f32_e32 v45, v45                                     // 00000000AB30: 7E5A452D
	v_pk_mul_f32 v[140:141], v[140:141], v[42:43]              // 00000000AB34: D3B1408C 1802558C
	v_pk_mul_f32 v[142:143], v[142:143], v[44:45]              // 00000000AB3C: D3B1408E 1802598E
	v_pk_mul_f32 v[140:141], v[140:141], v[76:77]              // 00000000AB44: D3B1408C 1802998C
	v_pk_mul_f32 v[142:143], v[142:143], v[78:79]              // 00000000AB4C: D3B1408E 18029D8E
	s_waitcnt vmcnt(16)                                        // 00000000AB54: BF8C4F70
	buffer_load_dwordx4 a[32:35], v46, s[12:15], 0 offen       // 00000000AB58: E05C1000 8083202E
	v_mul_f32_e64 v42, -v144, s6                               // 00000000AB60: D105002A 20000D90
	v_mul_f32_e64 v43, -v145, s6                               // 00000000AB68: D105002B 20000D91
	v_mul_f32_e64 v44, -v146, s6                               // 00000000AB70: D105002C 20000D92
	v_mul_f32_e64 v45, -v147, s6                               // 00000000AB78: D105002D 20000D93
	v_exp_f32_e32 v42, v42                                     // 00000000AB80: 7E54412A
	v_exp_f32_e32 v43, v43                                     // 00000000AB84: 7E56412B
	v_exp_f32_e32 v44, v44                                     // 00000000AB88: 7E58412C
	v_exp_f32_e32 v45, v45                                     // 00000000AB8C: 7E5A412D
	buffer_load_dwordx4 a[36:39], v47, s[12:15], 0 offen       // 00000000AB90: E05C1000 8083242F
	v_add_f32_e64 v42, v42, 1.0                                // 00000000AB98: D101002A 0001E52A
	v_add_f32_e64 v43, v43, 1.0                                // 00000000ABA0: D101002B 0001E52B
	v_add_f32_e64 v44, v44, 1.0                                // 00000000ABA8: D101002C 0001E52C
	v_add_f32_e64 v45, v45, 1.0                                // 00000000ABB0: D101002D 0001E52D
	v_rcp_f32_e32 v42, v42                                     // 00000000ABB8: 7E54452A
	v_rcp_f32_e32 v43, v43                                     // 00000000ABBC: 7E56452B
	v_rcp_f32_e32 v44, v44                                     // 00000000ABC0: 7E58452C
	v_rcp_f32_e32 v45, v45                                     // 00000000ABC4: 7E5A452D
	v_pk_mul_f32 v[144:145], v[144:145], v[42:43]              // 00000000ABC8: D3B14090 18025590
	v_pk_mul_f32 v[146:147], v[146:147], v[44:45]              // 00000000ABD0: D3B14092 18025992
	v_pk_mul_f32 v[144:145], v[144:145], v[80:81]              // 00000000ABD8: D3B14090 1802A190
	v_pk_mul_f32 v[146:147], v[146:147], v[82:83]              // 00000000ABE0: D3B14092 1802A592
	buffer_load_dwordx4 a[40:43], v48, s[12:15], 0 offen       // 00000000ABE8: E05C1000 80832830
	v_mul_f32_e64 v42, -v148, s6                               // 00000000ABF0: D105002A 20000D94
	v_mul_f32_e64 v43, -v149, s6                               // 00000000ABF8: D105002B 20000D95
	v_mul_f32_e64 v44, -v150, s6                               // 00000000AC00: D105002C 20000D96
	v_mul_f32_e64 v45, -v151, s6                               // 00000000AC08: D105002D 20000D97
	v_exp_f32_e32 v42, v42                                     // 00000000AC10: 7E54412A
	v_exp_f32_e32 v43, v43                                     // 00000000AC14: 7E56412B
	v_exp_f32_e32 v44, v44                                     // 00000000AC18: 7E58412C
	v_exp_f32_e32 v45, v45                                     // 00000000AC1C: 7E5A412D
	buffer_load_dwordx4 a[44:47], v49, s[12:15], 0 offen       // 00000000AC20: E05C1000 80832C31
	s_add_u32 s12, s78, s12                                    // 00000000AC28: 800C0C4E
	s_addc_u32 s13, 0, s13                                     // 00000000AC2C: 820D0D80
	v_add_f32_e64 v42, v42, 1.0                                // 00000000AC30: D101002A 0001E52A
	v_add_f32_e64 v43, v43, 1.0                                // 00000000AC38: D101002B 0001E52B
	v_add_f32_e64 v44, v44, 1.0                                // 00000000AC40: D101002C 0001E52C
	v_add_f32_e64 v45, v45, 1.0                                // 00000000AC48: D101002D 0001E52D
	v_rcp_f32_e32 v42, v42                                     // 00000000AC50: 7E54452A
	v_rcp_f32_e32 v43, v43                                     // 00000000AC54: 7E56452B
	v_rcp_f32_e32 v44, v44                                     // 00000000AC58: 7E58452C
	v_rcp_f32_e32 v45, v45                                     // 00000000AC5C: 7E5A452D
	v_pk_mul_f32 v[148:149], v[148:149], v[42:43]              // 00000000AC60: D3B14094 18025594
	v_pk_mul_f32 v[150:151], v[150:151], v[44:45]              // 00000000AC68: D3B14096 18025996
	v_pk_mul_f32 v[148:149], v[148:149], v[84:85]              // 00000000AC70: D3B14094 1802A994
	v_pk_mul_f32 v[150:151], v[150:151], v[86:87]              // 00000000AC78: D3B14096 1802AD96
	s_waitcnt vmcnt(16)                                        // 00000000AC80: BF8C4F70
	buffer_load_dwordx4 a[48:51], v46, s[12:15], 0 offen       // 00000000AC84: E05C1000 8083302E
	v_mul_f32_e64 v42, -v152, s6                               // 00000000AC8C: D105002A 20000D98
	v_mul_f32_e64 v43, -v153, s6                               // 00000000AC94: D105002B 20000D99
	v_mul_f32_e64 v44, -v154, s6                               // 00000000AC9C: D105002C 20000D9A
	v_mul_f32_e64 v45, -v155, s6                               // 00000000ACA4: D105002D 20000D9B
	v_exp_f32_e32 v42, v42                                     // 00000000ACAC: 7E54412A
	v_exp_f32_e32 v43, v43                                     // 00000000ACB0: 7E56412B
	v_exp_f32_e32 v44, v44                                     // 00000000ACB4: 7E58412C
	v_exp_f32_e32 v45, v45                                     // 00000000ACB8: 7E5A412D
	buffer_load_dwordx4 a[52:55], v47, s[12:15], 0 offen       // 00000000ACBC: E05C1000 8083342F
	v_add_f32_e64 v42, v42, 1.0                                // 00000000ACC4: D101002A 0001E52A
	v_add_f32_e64 v43, v43, 1.0                                // 00000000ACCC: D101002B 0001E52B
	v_add_f32_e64 v44, v44, 1.0                                // 00000000ACD4: D101002C 0001E52C
	v_add_f32_e64 v45, v45, 1.0                                // 00000000ACDC: D101002D 0001E52D
	v_rcp_f32_e32 v42, v42                                     // 00000000ACE4: 7E54452A
	v_rcp_f32_e32 v43, v43                                     // 00000000ACE8: 7E56452B
	v_rcp_f32_e32 v44, v44                                     // 00000000ACEC: 7E58452C
	v_rcp_f32_e32 v45, v45                                     // 00000000ACF0: 7E5A452D
	v_pk_mul_f32 v[152:153], v[152:153], v[42:43]              // 00000000ACF4: D3B14098 18025598
	v_pk_mul_f32 v[154:155], v[154:155], v[44:45]              // 00000000ACFC: D3B1409A 1802599A
	v_pk_mul_f32 v[152:153], v[152:153], v[88:89]              // 00000000AD04: D3B14098 1802B198
	v_pk_mul_f32 v[154:155], v[154:155], v[90:91]              // 00000000AD0C: D3B1409A 1802B59A
	buffer_load_dwordx4 a[56:59], v48, s[12:15], 0 offen       // 00000000AD14: E05C1000 80833830
	v_mul_f32_e64 v42, -v156, s6                               // 00000000AD1C: D105002A 20000D9C
	v_mul_f32_e64 v43, -v157, s6                               // 00000000AD24: D105002B 20000D9D
	v_mul_f32_e64 v44, -v158, s6                               // 00000000AD2C: D105002C 20000D9E
	v_mul_f32_e64 v45, -v159, s6                               // 00000000AD34: D105002D 20000D9F
	v_exp_f32_e32 v42, v42                                     // 00000000AD3C: 7E54412A
	v_exp_f32_e32 v43, v43                                     // 00000000AD40: 7E56412B
	v_exp_f32_e32 v44, v44                                     // 00000000AD44: 7E58412C
	v_exp_f32_e32 v45, v45                                     // 00000000AD48: 7E5A412D
	buffer_load_dwordx4 a[60:63], v49, s[12:15], 0 offen       // 00000000AD4C: E05C1000 80833C31
	s_add_u32 s12, s78, s12                                    // 00000000AD54: 800C0C4E
	s_addc_u32 s13, 0, s13                                     // 00000000AD58: 820D0D80
	v_add_f32_e64 v42, v42, 1.0                                // 00000000AD5C: D101002A 0001E52A
	v_add_f32_e64 v43, v43, 1.0                                // 00000000AD64: D101002B 0001E52B
	v_add_f32_e64 v44, v44, 1.0                                // 00000000AD6C: D101002C 0001E52C
	v_add_f32_e64 v45, v45, 1.0                                // 00000000AD74: D101002D 0001E52D
	v_rcp_f32_e32 v42, v42                                     // 00000000AD7C: 7E54452A
	v_rcp_f32_e32 v43, v43                                     // 00000000AD80: 7E56452B
	v_rcp_f32_e32 v44, v44                                     // 00000000AD84: 7E58452C
	v_rcp_f32_e32 v45, v45                                     // 00000000AD88: 7E5A452D
	v_pk_mul_f32 v[156:157], v[156:157], v[42:43]              // 00000000AD8C: D3B1409C 1802559C
	v_pk_mul_f32 v[158:159], v[158:159], v[44:45]              // 00000000AD94: D3B1409E 1802599E
	v_pk_mul_f32 v[156:157], v[156:157], v[92:93]              // 00000000AD9C: D3B1409C 1802B99C
	v_pk_mul_f32 v[158:159], v[158:159], v[94:95]              // 00000000ADA4: D3B1409E 1802BD9E
	s_waitcnt vmcnt(16)                                        // 00000000ADAC: BF8C4F70
	buffer_load_dwordx4 a[64:67], v46, s[12:15], 0 offen       // 00000000ADB0: E05C1000 8083402E
	v_mul_f32_e64 v42, -v160, s6                               // 00000000ADB8: D105002A 20000DA0
	v_mul_f32_e64 v43, -v161, s6                               // 00000000ADC0: D105002B 20000DA1
	v_mul_f32_e64 v44, -v162, s6                               // 00000000ADC8: D105002C 20000DA2
	v_mul_f32_e64 v45, -v163, s6                               // 00000000ADD0: D105002D 20000DA3
	v_exp_f32_e32 v42, v42                                     // 00000000ADD8: 7E54412A
	v_exp_f32_e32 v43, v43                                     // 00000000ADDC: 7E56412B
	v_exp_f32_e32 v44, v44                                     // 00000000ADE0: 7E58412C
	v_exp_f32_e32 v45, v45                                     // 00000000ADE4: 7E5A412D
	buffer_load_dwordx4 a[68:71], v47, s[12:15], 0 offen       // 00000000ADE8: E05C1000 8083442F
	v_add_f32_e64 v42, v42, 1.0                                // 00000000ADF0: D101002A 0001E52A
	v_add_f32_e64 v43, v43, 1.0                                // 00000000ADF8: D101002B 0001E52B
	v_add_f32_e64 v44, v44, 1.0                                // 00000000AE00: D101002C 0001E52C
	v_add_f32_e64 v45, v45, 1.0                                // 00000000AE08: D101002D 0001E52D
	v_rcp_f32_e32 v42, v42                                     // 00000000AE10: 7E54452A
	v_rcp_f32_e32 v43, v43                                     // 00000000AE14: 7E56452B
	v_rcp_f32_e32 v44, v44                                     // 00000000AE18: 7E58452C
	v_rcp_f32_e32 v45, v45                                     // 00000000AE1C: 7E5A452D
	v_pk_mul_f32 v[160:161], v[160:161], v[42:43]              // 00000000AE20: D3B140A0 180255A0
	v_pk_mul_f32 v[162:163], v[162:163], v[44:45]              // 00000000AE28: D3B140A2 180259A2
	v_pk_mul_f32 v[160:161], v[160:161], v[96:97]              // 00000000AE30: D3B140A0 1802C1A0
	v_pk_mul_f32 v[162:163], v[162:163], v[98:99]              // 00000000AE38: D3B140A2 1802C5A2
	buffer_load_dwordx4 a[72:75], v48, s[12:15], 0 offen       // 00000000AE40: E05C1000 80834830
	v_mul_f32_e64 v42, -v164, s6                               // 00000000AE48: D105002A 20000DA4
	v_mul_f32_e64 v43, -v165, s6                               // 00000000AE50: D105002B 20000DA5
	v_mul_f32_e64 v44, -v166, s6                               // 00000000AE58: D105002C 20000DA6
	v_mul_f32_e64 v45, -v167, s6                               // 00000000AE60: D105002D 20000DA7
	v_exp_f32_e32 v42, v42                                     // 00000000AE68: 7E54412A
	v_exp_f32_e32 v43, v43                                     // 00000000AE6C: 7E56412B
	v_exp_f32_e32 v44, v44                                     // 00000000AE70: 7E58412C
	v_exp_f32_e32 v45, v45                                     // 00000000AE74: 7E5A412D
	buffer_load_dwordx4 a[76:79], v49, s[12:15], 0 offen       // 00000000AE78: E05C1000 80834C31
	v_add_f32_e64 v42, v42, 1.0                                // 00000000AE80: D101002A 0001E52A
	v_add_f32_e64 v43, v43, 1.0                                // 00000000AE88: D101002B 0001E52B
	v_add_f32_e64 v44, v44, 1.0                                // 00000000AE90: D101002C 0001E52C
	v_add_f32_e64 v45, v45, 1.0                                // 00000000AE98: D101002D 0001E52D
	v_rcp_f32_e32 v42, v42                                     // 00000000AEA0: 7E54452A
	v_rcp_f32_e32 v43, v43                                     // 00000000AEA4: 7E56452B
	v_rcp_f32_e32 v44, v44                                     // 00000000AEA8: 7E58452C
	v_rcp_f32_e32 v45, v45                                     // 00000000AEAC: 7E5A452D
	v_pk_mul_f32 v[164:165], v[164:165], v[42:43]              // 00000000AEB0: D3B140A4 180255A4
	v_pk_mul_f32 v[166:167], v[166:167], v[44:45]              // 00000000AEB8: D3B140A6 180259A6
	v_pk_mul_f32 v[164:165], v[164:165], v[100:101]            // 00000000AEC0: D3B140A4 1802C9A4
	v_pk_mul_f32 v[166:167], v[166:167], v[102:103]            // 00000000AEC8: D3B140A6 1802CDA6
	v_mul_f32_dpp v128, v18, v128 row_newbcast:0 row_mask:0xf bank_mask:0xf// 00000000AED0: 0B0100FA FF015012
	v_mul_f32_dpp v129, v18, v129 row_newbcast:1 row_mask:0xf bank_mask:0xf// 00000000AED8: 0B0302FA FF015112
	v_mul_f32_dpp v130, v18, v130 row_newbcast:2 row_mask:0xf bank_mask:0xf// 00000000AEE0: 0B0504FA FF015212
	v_mul_f32_dpp v131, v18, v131 row_newbcast:3 row_mask:0xf bank_mask:0xf// 00000000AEE8: 0B0706FA FF015312
	v_mul_f32_dpp v132, v18, v132 row_newbcast:0 row_mask:0xf bank_mask:0xf// 00000000AEF0: 0B0908FA FF015012
	v_mul_f32_dpp v133, v18, v133 row_newbcast:1 row_mask:0xf bank_mask:0xf// 00000000AEF8: 0B0B0AFA FF015112
	v_mul_f32_dpp v134, v18, v134 row_newbcast:2 row_mask:0xf bank_mask:0xf// 00000000AF00: 0B0D0CFA FF015212
	v_mul_f32_dpp v135, v18, v135 row_newbcast:3 row_mask:0xf bank_mask:0xf// 00000000AF08: 0B0F0EFA FF015312
	v_mul_f32_dpp v136, v18, v136 row_newbcast:4 row_mask:0xf bank_mask:0xf// 00000000AF10: 0B1110FA FF015412
	v_mul_f32_dpp v137, v18, v137 row_newbcast:5 row_mask:0xf bank_mask:0xf// 00000000AF18: 0B1312FA FF015512
	v_mul_f32_dpp v138, v18, v138 row_newbcast:6 row_mask:0xf bank_mask:0xf// 00000000AF20: 0B1514FA FF015612
	v_mul_f32_dpp v139, v18, v139 row_newbcast:7 row_mask:0xf bank_mask:0xf// 00000000AF28: 0B1716FA FF015712
	v_mul_f32_dpp v140, v18, v140 row_newbcast:4 row_mask:0xf bank_mask:0xf// 00000000AF30: 0B1918FA FF015412
	v_mul_f32_dpp v141, v18, v141 row_newbcast:5 row_mask:0xf bank_mask:0xf// 00000000AF38: 0B1B1AFA FF015512
	v_mul_f32_dpp v142, v18, v142 row_newbcast:6 row_mask:0xf bank_mask:0xf// 00000000AF40: 0B1D1CFA FF015612
	v_mul_f32_dpp v143, v18, v143 row_newbcast:7 row_mask:0xf bank_mask:0xf// 00000000AF48: 0B1F1EFA FF015712
	v_mul_f32_dpp v144, v18, v144 row_newbcast:8 row_mask:0xf bank_mask:0xf// 00000000AF50: 0B2120FA FF015812
	v_mul_f32_dpp v145, v18, v145 row_newbcast:9 row_mask:0xf bank_mask:0xf// 00000000AF58: 0B2322FA FF015912
	v_mul_f32_dpp v146, v18, v146 row_newbcast:10 row_mask:0xf bank_mask:0xf// 00000000AF60: 0B2524FA FF015A12
	v_mul_f32_dpp v147, v18, v147 row_newbcast:11 row_mask:0xf bank_mask:0xf// 00000000AF68: 0B2726FA FF015B12
	v_mul_f32_dpp v148, v18, v148 row_newbcast:8 row_mask:0xf bank_mask:0xf// 00000000AF70: 0B2928FA FF015812
	v_mul_f32_dpp v149, v18, v149 row_newbcast:9 row_mask:0xf bank_mask:0xf// 00000000AF78: 0B2B2AFA FF015912
	v_mul_f32_dpp v150, v18, v150 row_newbcast:10 row_mask:0xf bank_mask:0xf// 00000000AF80: 0B2D2CFA FF015A12
	v_mul_f32_dpp v151, v18, v151 row_newbcast:11 row_mask:0xf bank_mask:0xf// 00000000AF88: 0B2F2EFA FF015B12
	v_mul_f32_dpp v152, v18, v152 row_newbcast:12 row_mask:0xf bank_mask:0xf// 00000000AF90: 0B3130FA FF015C12
	v_mul_f32_dpp v153, v18, v153 row_newbcast:13 row_mask:0xf bank_mask:0xf// 00000000AF98: 0B3332FA FF015D12
	v_mul_f32_dpp v154, v18, v154 row_newbcast:14 row_mask:0xf bank_mask:0xf// 00000000AFA0: 0B3534FA FF015E12
	v_mul_f32_dpp v155, v18, v155 row_newbcast:15 row_mask:0xf bank_mask:0xf// 00000000AFA8: 0B3736FA FF015F12
	v_mul_f32_dpp v156, v18, v156 row_newbcast:12 row_mask:0xf bank_mask:0xf// 00000000AFB0: 0B3938FA FF015C12
	v_mul_f32_dpp v157, v18, v157 row_newbcast:13 row_mask:0xf bank_mask:0xf// 00000000AFB8: 0B3B3AFA FF015D12
	v_mul_f32_dpp v158, v18, v158 row_newbcast:14 row_mask:0xf bank_mask:0xf// 00000000AFC0: 0B3D3CFA FF015E12
	v_mul_f32_dpp v159, v18, v159 row_newbcast:15 row_mask:0xf bank_mask:0xf// 00000000AFC8: 0B3F3EFA FF015F12
	v_mul_f32_dpp v160, v19, v160 row_newbcast:0 row_mask:0xf bank_mask:0xf// 00000000AFD0: 0B4140FA FF015013
	v_mul_f32_dpp v161, v19, v161 row_newbcast:1 row_mask:0xf bank_mask:0xf// 00000000AFD8: 0B4342FA FF015113
	v_mul_f32_dpp v162, v19, v162 row_newbcast:2 row_mask:0xf bank_mask:0xf// 00000000AFE0: 0B4544FA FF015213
	v_mul_f32_dpp v163, v19, v163 row_newbcast:3 row_mask:0xf bank_mask:0xf// 00000000AFE8: 0B4746FA FF015313
	v_mul_f32_dpp v164, v19, v164 row_newbcast:0 row_mask:0xf bank_mask:0xf// 00000000AFF0: 0B4948FA FF015013
	v_mul_f32_dpp v165, v19, v165 row_newbcast:1 row_mask:0xf bank_mask:0xf// 00000000AFF8: 0B4B4AFA FF015113
	v_mul_f32_dpp v166, v19, v166 row_newbcast:2 row_mask:0xf bank_mask:0xf// 00000000B000: 0B4D4CFA FF015213
	v_mul_f32_dpp v167, v19, v167 row_newbcast:3 row_mask:0xf bank_mask:0xf// 00000000B008: 0B4F4EFA FF015313
	v_lshlrev_b32_e32 v42, 2, v0                               // 00000000B010: 24540082
	s_mul_i32 s60, s82, s71                                    // 00000000B014: 923C4752
	v_add_u32_e64 v80, v42, s60                                // 00000000B018: D1340050 0000792A
	v_mov_b32_e32 v81, 0                                       // 00000000B020: 7EA20280
	s_mul_i32 s60, s83, s71                                    // 00000000B024: 923C4753
	v_add_u32_e64 v82, v42, s60                                // 00000000B028: D1340052 0000792A
	v_mov_b32_e32 v83, 0                                       // 00000000B030: 7EA60280
	s_mul_i32 s60, s84, s71                                    // 00000000B034: 923C4754
	v_add_u32_e64 v84, v42, s60                                // 00000000B038: D1340054 0000792A
	v_mov_b32_e32 v85, 0                                       // 00000000B040: 7EAA0280
	s_mul_i32 s60, s85, s71                                    // 00000000B044: 923C4755
	v_add_u32_e64 v86, v42, s60                                // 00000000B048: D1340056 0000792A
	v_mov_b32_e32 v87, 0                                       // 00000000B050: 7EAE0280
	s_mul_i32 s60, s86, s71                                    // 00000000B054: 923C4756
	v_add_u32_e64 v88, v42, s60                                // 00000000B058: D1340058 0000792A
	v_mov_b32_e32 v89, 0                                       // 00000000B060: 7EB20280
	s_mul_i32 s60, s87, s71                                    // 00000000B064: 923C4757
	v_add_u32_e64 v90, v42, s60                                // 00000000B068: D134005A 0000792A
	v_mov_b32_e32 v91, 0                                       // 00000000B070: 7EB60280
	s_mul_i32 s60, s88, s71                                    // 00000000B074: 923C4758
	v_add_u32_e64 v92, v42, s60                                // 00000000B078: D134005C 0000792A
	v_mov_b32_e32 v93, 0                                       // 00000000B080: 7EBA0280
	s_mul_i32 s60, s89, s71                                    // 00000000B084: 923C4759
	v_add_u32_e64 v94, v42, s60                                // 00000000B088: D134005E 0000792A
	v_mov_b32_e32 v95, 0                                       // 00000000B090: 7EBE0280
	buffer_load_dword v12, v5, s[16:19], 0 offen               // 00000000B094: E0501000 80040C05
	v_mov_b32_e32 v22, 0x358637bd                              // 00000000B09C: 7E2C02FF 358637BD
	v_mov_b32_e32 v23, 0x358637bd                              // 00000000B0A4: 7E2E02FF 358637BD
	v_max3_f32 v22, |v128|, |v129|, v22                        // 00000000B0AC: D1D30316 045B0380
	v_max3_f32 v22, |v130|, |v131|, v22                        // 00000000B0B4: D1D30316 045B0782
	v_max3_f32 v23, |v132|, |v133|, v23                        // 00000000B0BC: D1D30317 045F0B84
	v_max3_f32 v23, |v134|, |v135|, v23                        // 00000000B0C4: D1D30317 045F0F86
	v_max3_f32 v22, |v136|, |v137|, v22                        // 00000000B0CC: D1D30316 045B1388
	v_max3_f32 v22, |v138|, |v139|, v22                        // 00000000B0D4: D1D30316 045B178A
	v_max3_f32 v23, |v140|, |v141|, v23                        // 00000000B0DC: D1D30317 045F1B8C
	v_max3_f32 v23, |v142|, |v143|, v23                        // 00000000B0E4: D1D30317 045F1F8E
	v_max3_f32 v22, |v144|, |v145|, v22                        // 00000000B0EC: D1D30316 045B2390
	v_max3_f32 v22, |v146|, |v147|, v22                        // 00000000B0F4: D1D30316 045B2792
	v_max3_f32 v23, |v148|, |v149|, v23                        // 00000000B0FC: D1D30317 045F2B94
	v_max3_f32 v23, |v150|, |v151|, v23                        // 00000000B104: D1D30317 045F2F96
	v_max3_f32 v22, |v152|, |v153|, v22                        // 00000000B10C: D1D30316 045B3398
	v_max3_f32 v22, |v154|, |v155|, v22                        // 00000000B114: D1D30316 045B379A
	v_max3_f32 v23, |v156|, |v157|, v23                        // 00000000B11C: D1D30317 045F3B9C
	v_max3_f32 v23, |v158|, |v159|, v23                        // 00000000B124: D1D30317 045F3F9E
	v_max3_f32 v22, |v160|, |v161|, v22                        // 00000000B12C: D1D30316 045B43A0
	v_max3_f32 v22, |v162|, |v163|, v22                        // 00000000B134: D1D30316 045B47A2
	v_max3_f32 v23, |v164|, |v165|, v23                        // 00000000B13C: D1D30317 045F4BA4
	v_max3_f32 v23, |v166|, |v167|, v23                        // 00000000B144: D1D30317 045F4FA6
	v_lshlrev_b32_e32 v42, 3, v0                               // 00000000B14C: 24540083
	s_mul_i32 s60, 0x200, s5                                   // 00000000B150: 923C05FF 00000200
	v_add_u32_e32 v42, s60, v42                                // 00000000B158: 6854543C
	ds_write_b64 v42, v[22:23]                                 // 00000000B15C: D89A0000 0000162A
	s_waitcnt lgkmcnt(0)                                       // 00000000B164: BF8CC07F
	s_barrier                                                  // 00000000B168: BF8A0000
	v_and_b32_e32 v42, 15, v0                                  // 00000000B16C: 2654008F
	v_lshlrev_b32_e32 v42, 3, v42                              // 00000000B170: 24545483
	ds_read_b64 v[96:97], v42                                  // 00000000B174: D8EC0000 6000002A
	ds_read_b64 v[98:99], v42 offset:128                       // 00000000B17C: D8EC0080 6200002A
	ds_read_b64 v[100:101], v42 offset:256                     // 00000000B184: D8EC0100 6400002A
	ds_read_b64 v[102:103], v42 offset:384                     // 00000000B18C: D8EC0180 6600002A
	ds_read_b64 v[104:105], v42 offset:512                     // 00000000B194: D8EC0200 6800002A
	ds_read_b64 v[106:107], v42 offset:640                     // 00000000B19C: D8EC0280 6A00002A
	ds_read_b64 v[108:109], v42 offset:768                     // 00000000B1A4: D8EC0300 6C00002A
	ds_read_b64 v[110:111], v42 offset:896                     // 00000000B1AC: D8EC0380 6E00002A
	ds_read_b64 v[112:113], v42 offset:1024                    // 00000000B1B4: D8EC0400 7000002A
	ds_read_b64 v[114:115], v42 offset:1152                    // 00000000B1BC: D8EC0480 7200002A
	ds_read_b64 v[116:117], v42 offset:1280                    // 00000000B1C4: D8EC0500 7400002A
	ds_read_b64 v[118:119], v42 offset:1408                    // 00000000B1CC: D8EC0580 7600002A
	ds_read_b64 v[120:121], v42 offset:1536                    // 00000000B1D4: D8EC0600 7800002A
	ds_read_b64 v[122:123], v42 offset:1664                    // 00000000B1DC: D8EC0680 7A00002A
	ds_read_b64 v[124:125], v42 offset:1792                    // 00000000B1E4: D8EC0700 7C00002A
	ds_read_b64 v[126:127], v42 offset:1920                    // 00000000B1EC: D8EC0780 7E00002A
	s_waitcnt lgkmcnt(0)                                       // 00000000B1F4: BF8CC07F
	v_max3_f32 v22, |v96|, |v98|, v22                          // 00000000B1F8: D1D30316 045AC560
	v_max3_f32 v23, |v97|, |v99|, v23                          // 00000000B200: D1D30317 045EC761
	v_max3_f32 v22, |v100|, |v102|, v22                        // 00000000B208: D1D30316 045ACD64
	v_max3_f32 v23, |v101|, |v103|, v23                        // 00000000B210: D1D30317 045ECF65
	v_max3_f32 v22, |v104|, |v106|, v22                        // 00000000B218: D1D30316 045AD568
	v_max3_f32 v23, |v105|, |v107|, v23                        // 00000000B220: D1D30317 045ED769
	v_max3_f32 v22, |v108|, |v110|, v22                        // 00000000B228: D1D30316 045ADD6C
	v_max3_f32 v23, |v109|, |v111|, v23                        // 00000000B230: D1D30317 045EDF6D
	v_max3_f32 v22, |v112|, |v114|, v22                        // 00000000B238: D1D30316 045AE570
	v_max3_f32 v23, |v113|, |v115|, v23                        // 00000000B240: D1D30317 045EE771
	v_max3_f32 v22, |v116|, |v118|, v22                        // 00000000B248: D1D30316 045AED74
	v_max3_f32 v23, |v117|, |v119|, v23                        // 00000000B250: D1D30317 045EEF75
	v_max3_f32 v22, |v120|, |v122|, v22                        // 00000000B258: D1D30316 045AF578
	v_max3_f32 v23, |v121|, |v123|, v23                        // 00000000B260: D1D30317 045EF779
	v_max3_f32 v22, |v124|, |v126|, v22                        // 00000000B268: D1D30316 045AFD7C
	v_max3_f32 v23, |v125|, |v127|, v23                        // 00000000B270: D1D30317 045EFF7D
	v_rcp_f32_e32 v22, v22                                     // 00000000B278: 7E2C4516
	v_rcp_f32_e32 v23, v23                                     // 00000000B27C: 7E2E4517
	v_mov_b32_e32 v42, 0x42fe0000                              // 00000000B280: 7E5402FF 42FE0000
	v_mul_f32_e32 v22, v42, v22                                // 00000000B288: 0A2C2D2A
	v_mul_f32_e32 v23, v42, v23                                // 00000000B28C: 0A2E2F2A
	v_mul_f32_e32 v128, v22, v128                              // 00000000B290: 0B010116
	v_mul_f32_e32 v129, v22, v129                              // 00000000B294: 0B030316
	v_mul_f32_e32 v130, v22, v130                              // 00000000B298: 0B050516
	v_mul_f32_e32 v131, v22, v131                              // 00000000B29C: 0B070716
	v_cvt_i32_f32_e32 v128, v128                               // 00000000B2A0: 7F001180
	v_cvt_i32_f32_e32 v129, v129                               // 00000000B2A4: 7F021181
	v_cvt_i32_f32_e32 v130, v130                               // 00000000B2A8: 7F041182
	v_cvt_i32_f32_e32 v131, v131                               // 00000000B2AC: 7F061183
	v_perm_b32 v128, v129, v128, s53                           // 00000000B2B0: D1ED0080 00D70181
	v_perm_b32 v128, v130, v128, s54                           // 00000000B2B8: D1ED0080 00DB0182
	v_perm_b32 v128, v131, v128, s55                           // 00000000B2C0: D1ED0080 00DF0183
	v_mul_f32_e32 v132, v23, v132                              // 00000000B2C8: 0B090917
	v_mul_f32_e32 v133, v23, v133                              // 00000000B2CC: 0B0B0B17
	v_mul_f32_e32 v134, v23, v134                              // 00000000B2D0: 0B0D0D17
	v_mul_f32_e32 v135, v23, v135                              // 00000000B2D4: 0B0F0F17
	v_cvt_i32_f32_e32 v132, v132                               // 00000000B2D8: 7F081184
	v_cvt_i32_f32_e32 v133, v133                               // 00000000B2DC: 7F0A1185
	v_cvt_i32_f32_e32 v134, v134                               // 00000000B2E0: 7F0C1186
	v_cvt_i32_f32_e32 v135, v135                               // 00000000B2E4: 7F0E1187
	v_perm_b32 v129, v133, v132, s53                           // 00000000B2E8: D1ED0081 00D70985
	v_perm_b32 v129, v134, v129, s54                           // 00000000B2F0: D1ED0081 00DB0386
	v_perm_b32 v129, v135, v129, s55                           // 00000000B2F8: D1ED0081 00DF0387
	v_mul_f32_e32 v136, v22, v136                              // 00000000B300: 0B111116
	v_mul_f32_e32 v137, v22, v137                              // 00000000B304: 0B131316
	v_mul_f32_e32 v138, v22, v138                              // 00000000B308: 0B151516
	v_mul_f32_e32 v139, v22, v139                              // 00000000B30C: 0B171716
	v_cvt_i32_f32_e32 v136, v136                               // 00000000B310: 7F101188
	v_cvt_i32_f32_e32 v137, v137                               // 00000000B314: 7F121189
	v_cvt_i32_f32_e32 v138, v138                               // 00000000B318: 7F14118A
	v_cvt_i32_f32_e32 v139, v139                               // 00000000B31C: 7F16118B
	v_perm_b32 v130, v137, v136, s53                           // 00000000B320: D1ED0082 00D71189
	v_perm_b32 v130, v138, v130, s54                           // 00000000B328: D1ED0082 00DB058A
	v_perm_b32 v130, v139, v130, s55                           // 00000000B330: D1ED0082 00DF058B
	v_mul_f32_e32 v140, v23, v140                              // 00000000B338: 0B191917
	v_mul_f32_e32 v141, v23, v141                              // 00000000B33C: 0B1B1B17
	v_mul_f32_e32 v142, v23, v142                              // 00000000B340: 0B1D1D17
	v_mul_f32_e32 v143, v23, v143                              // 00000000B344: 0B1F1F17
	v_cvt_i32_f32_e32 v140, v140                               // 00000000B348: 7F18118C
	v_cvt_i32_f32_e32 v141, v141                               // 00000000B34C: 7F1A118D
	v_cvt_i32_f32_e32 v142, v142                               // 00000000B350: 7F1C118E
	v_cvt_i32_f32_e32 v143, v143                               // 00000000B354: 7F1E118F
	v_perm_b32 v131, v141, v140, s53                           // 00000000B358: D1ED0083 00D7198D
	v_perm_b32 v131, v142, v131, s54                           // 00000000B360: D1ED0083 00DB078E
	v_perm_b32 v131, v143, v131, s55                           // 00000000B368: D1ED0083 00DF078F
	v_mul_f32_e32 v144, v22, v144                              // 00000000B370: 0B212116
	v_mul_f32_e32 v145, v22, v145                              // 00000000B374: 0B232316
	v_mul_f32_e32 v146, v22, v146                              // 00000000B378: 0B252516
	v_mul_f32_e32 v147, v22, v147                              // 00000000B37C: 0B272716
	v_cvt_i32_f32_e32 v144, v144                               // 00000000B380: 7F201190
	v_cvt_i32_f32_e32 v145, v145                               // 00000000B384: 7F221191
	v_cvt_i32_f32_e32 v146, v146                               // 00000000B388: 7F241192
	v_cvt_i32_f32_e32 v147, v147                               // 00000000B38C: 7F261193
	v_perm_b32 v132, v145, v144, s53                           // 00000000B390: D1ED0084 00D72191
	v_perm_b32 v132, v146, v132, s54                           // 00000000B398: D1ED0084 00DB0992
	v_perm_b32 v132, v147, v132, s55                           // 00000000B3A0: D1ED0084 00DF0993
	v_mul_f32_e32 v148, v23, v148                              // 00000000B3A8: 0B292917
	v_mul_f32_e32 v149, v23, v149                              // 00000000B3AC: 0B2B2B17
	v_mul_f32_e32 v150, v23, v150                              // 00000000B3B0: 0B2D2D17
	v_mul_f32_e32 v151, v23, v151                              // 00000000B3B4: 0B2F2F17
	v_cvt_i32_f32_e32 v148, v148                               // 00000000B3B8: 7F281194
	v_cvt_i32_f32_e32 v149, v149                               // 00000000B3BC: 7F2A1195
	v_cvt_i32_f32_e32 v150, v150                               // 00000000B3C0: 7F2C1196
	v_cvt_i32_f32_e32 v151, v151                               // 00000000B3C4: 7F2E1197
	v_perm_b32 v133, v149, v148, s53                           // 00000000B3C8: D1ED0085 00D72995
	v_perm_b32 v133, v150, v133, s54                           // 00000000B3D0: D1ED0085 00DB0B96
	v_perm_b32 v133, v151, v133, s55                           // 00000000B3D8: D1ED0085 00DF0B97
	v_mul_f32_e32 v152, v22, v152                              // 00000000B3E0: 0B313116
	v_mul_f32_e32 v153, v22, v153                              // 00000000B3E4: 0B333316
	v_mul_f32_e32 v154, v22, v154                              // 00000000B3E8: 0B353516
	v_mul_f32_e32 v155, v22, v155                              // 00000000B3EC: 0B373716
	v_cvt_i32_f32_e32 v152, v152                               // 00000000B3F0: 7F301198
	v_cvt_i32_f32_e32 v153, v153                               // 00000000B3F4: 7F321199
	v_cvt_i32_f32_e32 v154, v154                               // 00000000B3F8: 7F34119A
	v_cvt_i32_f32_e32 v155, v155                               // 00000000B3FC: 7F36119B
	v_perm_b32 v134, v153, v152, s53                           // 00000000B400: D1ED0086 00D73199
	v_perm_b32 v134, v154, v134, s54                           // 00000000B408: D1ED0086 00DB0D9A
	v_perm_b32 v134, v155, v134, s55                           // 00000000B410: D1ED0086 00DF0D9B
	v_mul_f32_e32 v156, v23, v156                              // 00000000B418: 0B393917
	v_mul_f32_e32 v157, v23, v157                              // 00000000B41C: 0B3B3B17
	v_mul_f32_e32 v158, v23, v158                              // 00000000B420: 0B3D3D17
	v_mul_f32_e32 v159, v23, v159                              // 00000000B424: 0B3F3F17
	v_cvt_i32_f32_e32 v156, v156                               // 00000000B428: 7F38119C
	v_cvt_i32_f32_e32 v157, v157                               // 00000000B42C: 7F3A119D
	v_cvt_i32_f32_e32 v158, v158                               // 00000000B430: 7F3C119E
	v_cvt_i32_f32_e32 v159, v159                               // 00000000B434: 7F3E119F
	v_perm_b32 v135, v157, v156, s53                           // 00000000B438: D1ED0087 00D7399D
	v_perm_b32 v135, v158, v135, s54                           // 00000000B440: D1ED0087 00DB0F9E
	v_perm_b32 v135, v159, v135, s55                           // 00000000B448: D1ED0087 00DF0F9F
	v_mul_f32_e32 v160, v22, v160                              // 00000000B450: 0B414116
	v_mul_f32_e32 v161, v22, v161                              // 00000000B454: 0B434316
	v_mul_f32_e32 v162, v22, v162                              // 00000000B458: 0B454516
	v_mul_f32_e32 v163, v22, v163                              // 00000000B45C: 0B474716
	v_cvt_i32_f32_e32 v160, v160                               // 00000000B460: 7F4011A0
	v_cvt_i32_f32_e32 v161, v161                               // 00000000B464: 7F4211A1
	v_cvt_i32_f32_e32 v162, v162                               // 00000000B468: 7F4411A2
	v_cvt_i32_f32_e32 v163, v163                               // 00000000B46C: 7F4611A3
	v_perm_b32 v136, v161, v160, s53                           // 00000000B470: D1ED0088 00D741A1
	v_perm_b32 v136, v162, v136, s54                           // 00000000B478: D1ED0088 00DB11A2
	v_perm_b32 v136, v163, v136, s55                           // 00000000B480: D1ED0088 00DF11A3
	v_mul_f32_e32 v164, v23, v164                              // 00000000B488: 0B494917
	v_mul_f32_e32 v165, v23, v165                              // 00000000B48C: 0B4B4B17
	v_mul_f32_e32 v166, v23, v166                              // 00000000B490: 0B4D4D17
	v_mul_f32_e32 v167, v23, v167                              // 00000000B494: 0B4F4F17
	v_cvt_i32_f32_e32 v164, v164                               // 00000000B498: 7F4811A4
	v_cvt_i32_f32_e32 v165, v165                               // 00000000B49C: 7F4A11A5
	v_cvt_i32_f32_e32 v166, v166                               // 00000000B4A0: 7F4C11A6
	v_cvt_i32_f32_e32 v167, v167                               // 00000000B4A4: 7F4E11A7
	v_perm_b32 v137, v165, v164, s53                           // 00000000B4A8: D1ED0089 00D749A5
	v_perm_b32 v137, v166, v137, s54                           // 00000000B4B0: D1ED0089 00DB13A6
	v_perm_b32 v137, v167, v137, s55                           // 00000000B4B8: D1ED0089 00DF13A7
	v_rcp_f32_e32 v24, v22                                     // 00000000B4C0: 7E304516
	v_rcp_f32_e32 v25, v23                                     // 00000000B4C4: 7E324517
	v_lshrrev_b32_e32 v42, 5, v0                               // 00000000B4C8: 20540085
	v_lshlrev_b32_e32 v43, 5, v42                              // 00000000B4CC: 24565485
	v_and_b32_e32 v42, 31, v0                                  // 00000000B4D0: 2654009F
	v_lshrrev_b32_e32 v44, 4, v42                              // 00000000B4D4: 20585484
	v_add_u32_e32 v43, v44, v43                                // 00000000B4D8: 6856572C
	v_and_b32_e32 v42, 15, v0                                  // 00000000B4DC: 2654008F
	v_lshlrev_b32_e32 v42, 1, v42                              // 00000000B4E0: 24545481
	v_add_u32_e32 v43, v42, v43                                // 00000000B4E4: 6856572A
	v_lshlrev_b32_e32 v42, 2, v43                              // 00000000B4E8: 24545682
	s_mul_i32 s60, 0x100, s5                                   // 00000000B4EC: 923C05FF 00000100
	v_add_u32_e64 v42, v42, s60                                // 00000000B4F4: D134002A 0000792A
	ds_write_b32 v42, v128 offset:2048                         // 00000000B4FC: D81A0800 0000802A
	ds_write_b32 v42, v129 offset:7168                         // 00000000B504: D81A1C00 0000812A
	ds_write_b32 v42, v130 offset:3072                         // 00000000B50C: D81A0C00 0000822A
	ds_write_b32 v42, v131 offset:8192                         // 00000000B514: D81A2000 0000832A
	ds_write_b32 v42, v132 offset:4096                         // 00000000B51C: D81A1000 0000842A
	ds_write_b32 v42, v133 offset:9216                         // 00000000B524: D81A2400 0000852A
	ds_write_b32 v42, v134 offset:5120                         // 00000000B52C: D81A1400 0000862A
	ds_write_b32 v42, v135 offset:10240                        // 00000000B534: D81A2800 0000872A
	ds_write_b32 v42, v136 offset:6144                         // 00000000B53C: D81A1800 0000882A
	ds_write_b32 v42, v137 offset:11264                        // 00000000B544: D81A2C00 0000892A
	s_waitcnt lgkmcnt(0)                                       // 00000000B54C: BF8CC07F
	s_barrier                                                  // 00000000B550: BF8A0000
	v_lshrrev_b32_e32 v42, 4, v0                               // 00000000B554: 20540084
	v_lshlrev_b32_e32 v43, 6, v42                              // 00000000B558: 24565486
	v_and_b32_e32 v42, 15, v0                                  // 00000000B55C: 2654008F
	v_lshlrev_b32_e32 v42, 1, v42                              // 00000000B560: 24545481
	v_add_u32_e32 v43, v42, v43                                // 00000000B564: 6856572A
	v_lshlrev_b32_e32 v42, 2, v43                              // 00000000B568: 24545682
	ds_read_b64 v[128:129], v42 offset:2048                    // 00000000B56C: D8EC0800 8000002A
	ds_read_b64 v[130:131], v42 offset:2176                    // 00000000B574: D8EC0880 8200002A
	ds_read_b64 v[132:133], v42 offset:3072                    // 00000000B57C: D8EC0C00 8400002A
	ds_read_b64 v[134:135], v42 offset:3200                    // 00000000B584: D8EC0C80 8600002A
	ds_read_b64 v[136:137], v42 offset:4096                    // 00000000B58C: D8EC1000 8800002A
	ds_read_b64 v[138:139], v42 offset:4224                    // 00000000B594: D8EC1080 8A00002A
	ds_read_b64 v[140:141], v42 offset:5120                    // 00000000B59C: D8EC1400 8C00002A
	ds_read_b64 v[142:143], v42 offset:5248                    // 00000000B5A4: D8EC1480 8E00002A
	ds_read_b64 v[144:145], v42 offset:6144                    // 00000000B5AC: D8EC1800 9000002A
	ds_read_b64 v[146:147], v42 offset:6272                    // 00000000B5B4: D8EC1880 9200002A
	ds_read_b64 v[148:149], v42 offset:7168                    // 00000000B5BC: D8EC1C00 9400002A
	ds_read_b64 v[150:151], v42 offset:7296                    // 00000000B5C4: D8EC1C80 9600002A
	ds_read_b64 v[152:153], v42 offset:8192                    // 00000000B5CC: D8EC2000 9800002A
	ds_read_b64 v[154:155], v42 offset:8320                    // 00000000B5D4: D8EC2080 9A00002A
	ds_read_b64 v[156:157], v42 offset:9216                    // 00000000B5DC: D8EC2400 9C00002A
	ds_read_b64 v[158:159], v42 offset:9344                    // 00000000B5E4: D8EC2480 9E00002A
	ds_read_b64 v[160:161], v42 offset:10240                   // 00000000B5EC: D8EC2800 A000002A
	ds_read_b64 v[162:163], v42 offset:10368                   // 00000000B5F4: D8EC2880 A200002A
	ds_read_b64 v[164:165], v42 offset:11264                   // 00000000B5FC: D8EC2C00 A400002A
	ds_read_b64 v[166:167], v42 offset:11392                   // 00000000B604: D8EC2C80 A600002A
	s_add_u32 s12, s56, s12                                    // 00000000B60C: 800C0C38
	s_addc_u32 s13, 0, s13                                     // 00000000B610: 820D0D80
	s_add_u32 s16, s79, s16                                    // 00000000B614: 8010104F
	s_addc_u32 s17, 0, s17                                     // 00000000B618: 82111180
	s_waitcnt lgkmcnt(0)                                       // 00000000B61C: BF8CC07F
	s_barrier                                                  // 00000000B620: BF8A0000
	v_mov_b32_e32 v168, 0                                      // 00000000B624: 7F500280
	v_mov_b32_e32 v200, 0                                      // 00000000B628: 7F900280
	v_mov_b32_e32 v169, 0                                      // 00000000B62C: 7F520280
	v_mov_b32_e32 v201, 0                                      // 00000000B630: 7F920280
	v_mov_b32_e32 v170, 0                                      // 00000000B634: 7F540280
	v_mov_b32_e32 v202, 0                                      // 00000000B638: 7F940280
	v_mov_b32_e32 v171, 0                                      // 00000000B63C: 7F560280
	v_mov_b32_e32 v203, 0                                      // 00000000B640: 7F960280
	v_mov_b32_e32 v172, 0                                      // 00000000B644: 7F580280
	v_mov_b32_e32 v204, 0                                      // 00000000B648: 7F980280
	v_mov_b32_e32 v173, 0                                      // 00000000B64C: 7F5A0280
	v_mov_b32_e32 v205, 0                                      // 00000000B650: 7F9A0280
	v_mov_b32_e32 v174, 0                                      // 00000000B654: 7F5C0280
	v_mov_b32_e32 v206, 0                                      // 00000000B658: 7F9C0280
	v_mov_b32_e32 v175, 0                                      // 00000000B65C: 7F5E0280
	v_mov_b32_e32 v207, 0                                      // 00000000B660: 7F9E0280
	v_mov_b32_e32 v176, 0                                      // 00000000B664: 7F600280
	v_mov_b32_e32 v208, 0                                      // 00000000B668: 7FA00280
	v_mov_b32_e32 v177, 0                                      // 00000000B66C: 7F620280
	v_mov_b32_e32 v209, 0                                      // 00000000B670: 7FA20280
	v_mov_b32_e32 v178, 0                                      // 00000000B674: 7F640280
	v_mov_b32_e32 v210, 0                                      // 00000000B678: 7FA40280
	v_mov_b32_e32 v179, 0                                      // 00000000B67C: 7F660280
	v_mov_b32_e32 v211, 0                                      // 00000000B680: 7FA60280
	v_mov_b32_e32 v180, 0                                      // 00000000B684: 7F680280
	v_mov_b32_e32 v212, 0                                      // 00000000B688: 7FA80280
	v_mov_b32_e32 v181, 0                                      // 00000000B68C: 7F6A0280
	v_mov_b32_e32 v213, 0                                      // 00000000B690: 7FAA0280
	v_mov_b32_e32 v182, 0                                      // 00000000B694: 7F6C0280
	v_mov_b32_e32 v214, 0                                      // 00000000B698: 7FAC0280
	v_mov_b32_e32 v183, 0                                      // 00000000B69C: 7F6E0280
	v_mov_b32_e32 v215, 0                                      // 00000000B6A0: 7FAE0280
	ds_write_b64 v3, v[168:169] offset:2048                    // 00000000B6A4: D89A0800 0000A803
	ds_write_b64 v3, v[170:171] offset:10752                   // 00000000B6AC: D89A2A00 0000AA03
	ds_write_b64 v3, v[172:173] offset:4224                    // 00000000B6B4: D89A1080 0000AC03
	ds_write_b64 v3, v[174:175] offset:12928                   // 00000000B6BC: D89A3280 0000AE03
	ds_write_b64 v3, v[176:177] offset:6400                    // 00000000B6C4: D89A1900 0000B003
	ds_write_b64 v3, v[178:179] offset:15104                   // 00000000B6CC: D89A3B00 0000B203
	ds_write_b64 v3, v[180:181] offset:8576                    // 00000000B6D4: D89A2180 0000B403
	ds_write_b64 v3, v[182:183] offset:17280                   // 00000000B6DC: D89A4380 0000B603
	s_mov_b32 s80, 0                                           // 00000000B6E4: BED00080
	s_waitcnt vmcnt(0) expcnt(0) lgkmcnt(0)                    // 00000000B6E8: BF8C0000

000000000000b6ec <label_22FB>:
	s_waitcnt vmcnt(17) lgkmcnt(0)                             // 00000000B6EC: BF8C4071
	s_barrier                                                  // 00000000B6F0: BF8A0000
	v_mfma_i32_16x16x32_i8 v[168:171], a[0:1], v[128:129], 0   // 00000000B6F4: D3D700A8 0A030100
	buffer_load_dwordx4 a[80:83], v46, s[12:15], 0 offen       // 00000000B6FC: E05C1000 8083502E
	v_mfma_i32_16x16x32_i8 v[168:171], a[2:3], v[130:131], v[168:171]// 00000000B704: D3D700A8 0EA30502
	ds_read_b32 v64, v4 offset:2048                            // 00000000B70C: D86C0800 40000004
	ds_read_b32 v65, v4 offset:6400                            // 00000000B714: D86C1900 41000004
	v_mfma_i32_16x16x32_i8 v[172:175], a[0:1], v[148:149], 0   // 00000000B71C: D3D700AC 0A032900
	v_mfma_i32_16x16x32_i8 v[172:175], a[2:3], v[150:151], v[172:175]// 00000000B724: D3D700AC 0EB32D02
	ds_read_b32 v66, v4 offset:2080                            // 00000000B72C: D86C0820 42000004
	ds_read_b32 v67, v4 offset:6432                            // 00000000B734: D86C1920 43000004
	v_mfma_i32_16x16x32_i8 v[176:179], a[4:5], v[128:129], 0   // 00000000B73C: D3D700B0 0A030104
	buffer_load_dwordx4 a[84:87], v47, s[12:15], 0 offen       // 00000000B744: E05C1000 8083542F
	v_mfma_i32_16x16x32_i8 v[176:179], a[6:7], v[130:131], v[176:179]// 00000000B74C: D3D700B0 0EC30506
	ds_read_b32 v68, v4 offset:2112                            // 00000000B754: D86C0840 44000004
	ds_read_b32 v69, v4 offset:6464                            // 00000000B75C: D86C1940 45000004
	v_mfma_i32_16x16x32_i8 v[180:183], a[4:5], v[148:149], 0   // 00000000B764: D3D700B4 0A032904
	v_mfma_i32_16x16x32_i8 v[180:183], a[6:7], v[150:151], v[180:183]// 00000000B76C: D3D700B4 0ED32D06
	ds_read_b32 v70, v4 offset:2144                            // 00000000B774: D86C0860 46000004
	ds_read_b32 v71, v4 offset:6496                            // 00000000B77C: D86C1960 47000004
	v_mfma_i32_16x16x32_i8 v[184:187], a[8:9], v[128:129], 0   // 00000000B784: D3D700B8 0A030108
	buffer_load_dwordx4 a[88:91], v48, s[12:15], 0 offen       // 00000000B78C: E05C1000 80835830
	v_mfma_i32_16x16x32_i8 v[184:187], a[10:11], v[130:131], v[184:187]// 00000000B794: D3D700B8 0EE3050A
	ds_read_b32 v72, v4 offset:10752                           // 00000000B79C: D86C2A00 48000004
	ds_read_b32 v73, v4 offset:15104                           // 00000000B7A4: D86C3B00 49000004
	v_mfma_i32_16x16x32_i8 v[188:191], a[8:9], v[148:149], 0   // 00000000B7AC: D3D700BC 0A032908
	v_mfma_i32_16x16x32_i8 v[188:191], a[10:11], v[150:151], v[188:191]// 00000000B7B4: D3D700BC 0EF32D0A
	ds_read_b32 v74, v4 offset:10784                           // 00000000B7BC: D86C2A20 4A000004
	ds_read_b32 v75, v4 offset:15136                           // 00000000B7C4: D86C3B20 4B000004
	v_mfma_i32_16x16x32_i8 v[192:195], a[12:13], v[128:129], 0 // 00000000B7CC: D3D700C0 0A03010C
	buffer_load_dwordx4 a[92:95], v49, s[12:15], 0 offen       // 00000000B7D4: E05C1000 80835C31
	s_add_u32 s12, s78, s12                                    // 00000000B7DC: 800C0C4E
	s_addc_u32 s13, 0, s13                                     // 00000000B7E0: 820D0D80
	v_mfma_i32_16x16x32_i8 v[192:195], a[14:15], v[130:131], v[192:195]// 00000000B7E4: D3D700C0 0F03050E
	ds_read_b32 v76, v4 offset:10816                           // 00000000B7EC: D86C2A40 4C000004
	ds_read_b32 v77, v4 offset:15168                           // 00000000B7F4: D86C3B40 4D000004
	v_mfma_i32_16x16x32_i8 v[196:199], a[12:13], v[148:149], 0 // 00000000B7FC: D3D700C4 0A03290C
	v_mfma_i32_16x16x32_i8 v[196:199], a[14:15], v[150:151], v[196:199]// 00000000B804: D3D700C4 0F132D0E
	ds_read_b32 v78, v4 offset:10848                           // 00000000B80C: D86C2A60 4E000004
	ds_read_b32 v79, v4 offset:15200                           // 00000000B814: D86C3B60 4F000004
	s_waitcnt vmcnt(17)                                        // 00000000B81C: BF8C4F71
	v_mfma_i32_16x16x32_i8 v[168:171], a[16:17], v[132:133], v[168:171]// 00000000B820: D3D700A8 0EA30910
	buffer_load_dwordx4 a[96:99], v46, s[12:15], 0 offen       // 00000000B828: E05C1000 8083602E
	v_mfma_i32_16x16x32_i8 v[168:171], a[18:19], v[134:135], v[168:171]// 00000000B830: D3D700A8 0EA30D12
	v_mfma_i32_16x16x32_i8 v[172:175], a[16:17], v[152:153], v[172:175]// 00000000B838: D3D700AC 0EB33110
	v_mfma_i32_16x16x32_i8 v[172:175], a[18:19], v[154:155], v[172:175]// 00000000B840: D3D700AC 0EB33512
	v_mfma_i32_16x16x32_i8 v[176:179], a[20:21], v[132:133], v[176:179]// 00000000B848: D3D700B0 0EC30914
	buffer_load_dwordx4 a[100:103], v47, s[12:15], 0 offen     // 00000000B850: E05C1000 8083642F
	v_mfma_i32_16x16x32_i8 v[176:179], a[22:23], v[134:135], v[176:179]// 00000000B858: D3D700B0 0EC30D16
	v_mfma_i32_16x16x32_i8 v[180:183], a[20:21], v[152:153], v[180:183]// 00000000B860: D3D700B4 0ED33114
	v_mfma_i32_16x16x32_i8 v[180:183], a[22:23], v[154:155], v[180:183]// 00000000B868: D3D700B4 0ED33516
	v_mfma_i32_16x16x32_i8 v[184:187], a[24:25], v[132:133], v[184:187]// 00000000B870: D3D700B8 0EE30918
	buffer_load_dwordx4 a[104:107], v48, s[12:15], 0 offen     // 00000000B878: E05C1000 80836830
	v_mfma_i32_16x16x32_i8 v[184:187], a[26:27], v[134:135], v[184:187]// 00000000B880: D3D700B8 0EE30D1A
	v_mfma_i32_16x16x32_i8 v[188:191], a[24:25], v[152:153], v[188:191]// 00000000B888: D3D700BC 0EF33118
	v_mfma_i32_16x16x32_i8 v[188:191], a[26:27], v[154:155], v[188:191]// 00000000B890: D3D700BC 0EF3351A
	v_mfma_i32_16x16x32_i8 v[192:195], a[28:29], v[132:133], v[192:195]// 00000000B898: D3D700C0 0F03091C
	buffer_load_dwordx4 a[108:111], v49, s[12:15], 0 offen     // 00000000B8A0: E05C1000 80836C31
	s_add_u32 s12, s78, s12                                    // 00000000B8A8: 800C0C4E
	s_addc_u32 s13, 0, s13                                     // 00000000B8AC: 820D0D80
	v_mfma_i32_16x16x32_i8 v[192:195], a[30:31], v[134:135], v[192:195]// 00000000B8B0: D3D700C0 0F030D1E
	v_mfma_i32_16x16x32_i8 v[196:199], a[28:29], v[152:153], v[196:199]// 00000000B8B8: D3D700C4 0F13311C
	v_mfma_i32_16x16x32_i8 v[196:199], a[30:31], v[154:155], v[196:199]// 00000000B8C0: D3D700C4 0F13351E
	s_waitcnt vmcnt(17)                                        // 00000000B8C8: BF8C4F71
	v_mfma_i32_16x16x32_i8 v[168:171], a[32:33], v[136:137], v[168:171]// 00000000B8CC: D3D700A8 0EA31120
	buffer_load_dwordx4 a[112:115], v46, s[12:15], 0 offen     // 00000000B8D4: E05C1000 8083702E
	v_mfma_i32_16x16x32_i8 v[168:171], a[34:35], v[138:139], v[168:171]// 00000000B8DC: D3D700A8 0EA31522
	ds_write_b64 v3, v[200:201] offset:19456                   // 00000000B8E4: D89A4C00 0000C803
	v_mfma_i32_16x16x32_i8 v[172:175], a[32:33], v[156:157], v[172:175]// 00000000B8EC: D3D700AC 0EB33920
	v_mfma_i32_16x16x32_i8 v[172:175], a[34:35], v[158:159], v[172:175]// 00000000B8F4: D3D700AC 0EB33D22
	ds_write_b64 v3, v[202:203] offset:28160                   // 00000000B8FC: D89A6E00 0000CA03
	v_mfma_i32_16x16x32_i8 v[176:179], a[36:37], v[136:137], v[176:179]// 00000000B904: D3D700B0 0EC31124
	buffer_load_dwordx4 a[116:119], v47, s[12:15], 0 offen     // 00000000B90C: E05C1000 8083742F
	v_mfma_i32_16x16x32_i8 v[176:179], a[38:39], v[138:139], v[176:179]// 00000000B914: D3D700B0 0EC31526
	ds_write_b64 v3, v[204:205] offset:21632                   // 00000000B91C: D89A5480 0000CC03
	v_mfma_i32_16x16x32_i8 v[180:183], a[36:37], v[156:157], v[180:183]// 00000000B924: D3D700B4 0ED33924
	v_mfma_i32_16x16x32_i8 v[180:183], a[38:39], v[158:159], v[180:183]// 00000000B92C: D3D700B4 0ED33D26
	ds_write_b64 v3, v[206:207] offset:30336                   // 00000000B934: D89A7680 0000CE03
	v_mfma_i32_16x16x32_i8 v[184:187], a[40:41], v[136:137], v[184:187]// 00000000B93C: D3D700B8 0EE31128
	buffer_load_dwordx4 a[120:123], v48, s[12:15], 0 offen     // 00000000B944: E05C1000 80837830
	v_mfma_i32_16x16x32_i8 v[184:187], a[42:43], v[138:139], v[184:187]// 00000000B94C: D3D700B8 0EE3152A
	ds_write_b64 v3, v[208:209] offset:23808                   // 00000000B954: D89A5D00 0000D003
	v_mfma_i32_16x16x32_i8 v[188:191], a[40:41], v[156:157], v[188:191]// 00000000B95C: D3D700BC 0EF33928
	v_mfma_i32_16x16x32_i8 v[188:191], a[42:43], v[158:159], v[188:191]// 00000000B964: D3D700BC 0EF33D2A
	ds_write_b64 v3, v[210:211] offset:32512                   // 00000000B96C: D89A7F00 0000D203
	v_mfma_i32_16x16x32_i8 v[192:195], a[44:45], v[136:137], v[192:195]// 00000000B974: D3D700C0 0F03112C
	buffer_load_dwordx4 a[124:127], v49, s[12:15], 0 offen     // 00000000B97C: E05C1000 80837C31
	s_add_u32 s12, s78, s12                                    // 00000000B984: 800C0C4E
	s_addc_u32 s13, 0, s13                                     // 00000000B988: 820D0D80
	v_mfma_i32_16x16x32_i8 v[192:195], a[46:47], v[138:139], v[192:195]// 00000000B98C: D3D700C0 0F03152E
	ds_write_b64 v3, v[212:213] offset:25984                   // 00000000B994: D89A6580 0000D403
	v_mfma_i32_16x16x32_i8 v[196:199], a[44:45], v[156:157], v[196:199]// 00000000B99C: D3D700C4 0F13392C
	v_mfma_i32_16x16x32_i8 v[196:199], a[46:47], v[158:159], v[196:199]// 00000000B9A4: D3D700C4 0F133D2E
	ds_write_b64 v3, v[214:215] offset:34688                   // 00000000B9AC: D89A8780 0000D603
	s_waitcnt vmcnt(17)                                        // 00000000B9B4: BF8C4F71
	v_mfma_i32_16x16x32_i8 v[168:171], a[48:49], v[140:141], v[168:171]// 00000000B9B8: D3D700A8 0EA31930
	buffer_load_dwordx4 a[128:131], v46, s[12:15], 0 offen     // 00000000B9C0: E05C1000 8083802E
	v_mfma_i32_16x16x32_i8 v[168:171], a[50:51], v[142:143], v[168:171]// 00000000B9C8: D3D700A8 0EA31D32
	v_mfma_i32_16x16x32_i8 v[172:175], a[48:49], v[160:161], v[172:175]// 00000000B9D0: D3D700AC 0EB34130
	v_mfma_i32_16x16x32_i8 v[172:175], a[50:51], v[162:163], v[172:175]// 00000000B9D8: D3D700AC 0EB34532
	v_mfma_i32_16x16x32_i8 v[176:179], a[52:53], v[140:141], v[176:179]// 00000000B9E0: D3D700B0 0EC31934
	buffer_load_dwordx4 a[132:135], v47, s[12:15], 0 offen     // 00000000B9E8: E05C1000 8083842F
	v_mfma_i32_16x16x32_i8 v[176:179], a[54:55], v[142:143], v[176:179]// 00000000B9F0: D3D700B0 0EC31D36
	v_mfma_i32_16x16x32_i8 v[180:183], a[52:53], v[160:161], v[180:183]// 00000000B9F8: D3D700B4 0ED34134
	v_mfma_i32_16x16x32_i8 v[180:183], a[54:55], v[162:163], v[180:183]// 00000000BA00: D3D700B4 0ED34536
	v_mfma_i32_16x16x32_i8 v[184:187], a[56:57], v[140:141], v[184:187]// 00000000BA08: D3D700B8 0EE31938
	buffer_load_dwordx4 a[136:139], v48, s[12:15], 0 offen     // 00000000BA10: E05C1000 80838830
	v_mfma_i32_16x16x32_i8 v[184:187], a[58:59], v[142:143], v[184:187]// 00000000BA18: D3D700B8 0EE31D3A
	v_mfma_i32_16x16x32_i8 v[188:191], a[56:57], v[160:161], v[188:191]// 00000000BA20: D3D700BC 0EF34138
	v_mfma_i32_16x16x32_i8 v[188:191], a[58:59], v[162:163], v[188:191]// 00000000BA28: D3D700BC 0EF3453A
	v_mfma_i32_16x16x32_i8 v[192:195], a[60:61], v[140:141], v[192:195]// 00000000BA30: D3D700C0 0F03193C
	buffer_load_dwordx4 a[140:143], v49, s[12:15], 0 offen     // 00000000BA38: E05C1000 80838C31
	s_add_u32 s12, s78, s12                                    // 00000000BA40: 800C0C4E
	s_addc_u32 s13, 0, s13                                     // 00000000BA44: 820D0D80
	v_mfma_i32_16x16x32_i8 v[192:195], a[62:63], v[142:143], v[192:195]// 00000000BA48: D3D700C0 0F031D3E
	v_mfma_i32_16x16x32_i8 v[196:199], a[60:61], v[160:161], v[196:199]// 00000000BA50: D3D700C4 0F13413C
	v_mfma_i32_16x16x32_i8 v[196:199], a[62:63], v[162:163], v[196:199]// 00000000BA58: D3D700C4 0F13453E
	s_waitcnt vmcnt(16)                                        // 00000000BA60: BF8C4F70
	v_mfma_i32_16x16x32_i8 v[168:171], a[64:65], v[144:145], v[168:171]// 00000000BA64: D3D700A8 0EA32140
	buffer_load_dwordx4 a[144:147], v46, s[12:15], 0 offen     // 00000000BA6C: E05C1000 8083902E
	v_mfma_i32_16x16x32_i8 v[168:171], a[66:67], v[146:147], v[168:171]// 00000000BA74: D3D700A8 0EA32542
	v_mfma_i32_16x16x32_i8 v[172:175], a[64:65], v[164:165], v[172:175]// 00000000BA7C: D3D700AC 0EB34940
	buffer_load_dword v13, v5, s[16:19], 0 offen               // 00000000BA84: E0501000 80040D05
	v_mfma_i32_16x16x32_i8 v[172:175], a[66:67], v[166:167], v[172:175]// 00000000BA8C: D3D700AC 0EB34D42
	v_mfma_i32_16x16x32_i8 v[176:179], a[68:69], v[144:145], v[176:179]// 00000000BA94: D3D700B0 0EC32144
	buffer_load_dwordx4 a[148:151], v47, s[12:15], 0 offen     // 00000000BA9C: E05C1000 8083942F
	v_mfma_i32_16x16x32_i8 v[176:179], a[70:71], v[146:147], v[176:179]// 00000000BAA4: D3D700B0 0EC32546
	v_mfma_i32_16x16x32_i8 v[180:183], a[68:69], v[164:165], v[180:183]// 00000000BAAC: D3D700B4 0ED34944
	v_mfma_i32_16x16x32_i8 v[180:183], a[70:71], v[166:167], v[180:183]// 00000000BAB4: D3D700B4 0ED34D46
	v_mfma_i32_16x16x32_i8 v[184:187], a[72:73], v[144:145], v[184:187]// 00000000BABC: D3D700B8 0EE32148
	buffer_load_dwordx4 a[152:155], v48, s[12:15], 0 offen     // 00000000BAC4: E05C1000 80839830
	v_mfma_i32_16x16x32_i8 v[184:187], a[74:75], v[146:147], v[184:187]// 00000000BACC: D3D700B8 0EE3254A
	v_mfma_i32_16x16x32_i8 v[188:191], a[72:73], v[164:165], v[188:191]// 00000000BAD4: D3D700BC 0EF34948
	v_mfma_i32_16x16x32_i8 v[188:191], a[74:75], v[166:167], v[188:191]// 00000000BADC: D3D700BC 0EF34D4A
	v_mfma_i32_16x16x32_i8 v[192:195], a[76:77], v[144:145], v[192:195]// 00000000BAE4: D3D700C0 0F03214C
	buffer_load_dwordx4 a[156:159], v49, s[12:15], 0 offen     // 00000000BAEC: E05C1000 80839C31
	v_mfma_i32_16x16x32_i8 v[192:195], a[78:79], v[146:147], v[192:195]// 00000000BAF4: D3D700C0 0F03254E
	v_mfma_i32_16x16x32_i8 v[196:199], a[76:77], v[164:165], v[196:199]// 00000000BAFC: D3D700C4 0F13494C
	v_mfma_i32_16x16x32_i8 v[196:199], a[78:79], v[166:167], v[196:199]// 00000000BB04: D3D700C4 0F134D4E
	s_add_u32 s60, 0x200, s80                                  // 00000000BB0C: 803C50FF 00000200
	s_cmp_lt_u32 s60, s81                                      // 00000000BB14: BF0A513C
	s_cselect_b32 s56, s56, 0                                  // 00000000BB18: 85388038
	s_cselect_b32 s78, s78, 0                                  // 00000000BB1C: 854E804E
	s_cselect_b32 s79, s79, 0                                  // 00000000BB20: 854F804F
	s_add_u32 s12, s56, s12                                    // 00000000BB24: 800C0C38
	s_addc_u32 s13, 0, s13                                     // 00000000BB28: 820D0D80
	s_add_u32 s16, s79, s16                                    // 00000000BB2C: 8010104F
	s_addc_u32 s17, 0, s17                                     // 00000000BB30: 82111180
	v_mov_b32_e32 v42, v24                                     // 00000000BB34: 7E540318
	v_mov_b32_e32 v44, v20                                     // 00000000BB38: 7E580314
	v_mov_b32_e32 v43, v42                                     // 00000000BB3C: 7E56032A
	v_mov_b32_e32 v45, v44                                     // 00000000BB40: 7E5A032C
	v_cvt_f32_i32_e32 v168, v168                               // 00000000BB44: 7F500BA8
	v_cvt_f32_i32_e32 v169, v169                               // 00000000BB48: 7F520BA9
	v_cvt_f32_i32_e32 v170, v170                               // 00000000BB4C: 7F540BAA
	v_cvt_f32_i32_e32 v171, v171                               // 00000000BB50: 7F560BAB
	v_pk_mul_f32 v[168:169], v[42:43], v[168:169]              // 00000000BB54: D3B140A8 1803512A
	v_pk_mul_f32 v[170:171], v[42:43], v[170:171]              // 00000000BB5C: D3B140AA 1803552A
	v_mul_f32_dpp v168, v12, v168 row_newbcast:0 row_mask:0xf bank_mask:0xf// 00000000BB64: 0B5150FA FF01500C
	v_mul_f32_dpp v169, v12, v169 row_newbcast:1 row_mask:0xf bank_mask:0xf// 00000000BB6C: 0B5352FA FF01510C
	v_mul_f32_dpp v170, v12, v170 row_newbcast:2 row_mask:0xf bank_mask:0xf// 00000000BB74: 0B5554FA FF01520C
	v_mul_f32_dpp v171, v12, v171 row_newbcast:3 row_mask:0xf bank_mask:0xf// 00000000BB7C: 0B5756FA FF01530C
	v_pk_mul_f32 v[168:169], v[44:45], v[168:169]              // 00000000BB84: D3B140A8 1803512C
	v_pk_mul_f32 v[170:171], v[44:45], v[170:171]              // 00000000BB8C: D3B140AA 1803552C
	v_cvt_f32_i32_e32 v176, v176                               // 00000000BB94: 7F600BB0
	v_cvt_f32_i32_e32 v177, v177                               // 00000000BB98: 7F620BB1
	v_cvt_f32_i32_e32 v178, v178                               // 00000000BB9C: 7F640BB2
	v_cvt_f32_i32_e32 v179, v179                               // 00000000BBA0: 7F660BB3
	v_pk_mul_f32 v[176:177], v[42:43], v[176:177]              // 00000000BBA4: D3B140B0 1803612A
	v_pk_mul_f32 v[178:179], v[42:43], v[178:179]              // 00000000BBAC: D3B140B2 1803652A
	v_mul_f32_dpp v176, v12, v176 row_newbcast:4 row_mask:0xf bank_mask:0xf// 00000000BBB4: 0B6160FA FF01540C
	v_mul_f32_dpp v177, v12, v177 row_newbcast:5 row_mask:0xf bank_mask:0xf// 00000000BBBC: 0B6362FA FF01550C
	v_mul_f32_dpp v178, v12, v178 row_newbcast:6 row_mask:0xf bank_mask:0xf// 00000000BBC4: 0B6564FA FF01560C
	v_mul_f32_dpp v179, v12, v179 row_newbcast:7 row_mask:0xf bank_mask:0xf// 00000000BBCC: 0B6766FA FF01570C
	v_pk_mul_f32 v[176:177], v[44:45], v[176:177]              // 00000000BBD4: D3B140B0 1803612C
	v_pk_mul_f32 v[178:179], v[44:45], v[178:179]              // 00000000BBDC: D3B140B2 1803652C
	v_cvt_f32_i32_e32 v184, v184                               // 00000000BBE4: 7F700BB8
	v_cvt_f32_i32_e32 v185, v185                               // 00000000BBE8: 7F720BB9
	v_cvt_f32_i32_e32 v186, v186                               // 00000000BBEC: 7F740BBA
	v_cvt_f32_i32_e32 v187, v187                               // 00000000BBF0: 7F760BBB
	v_pk_mul_f32 v[184:185], v[42:43], v[184:185]              // 00000000BBF4: D3B140B8 1803712A
	v_pk_mul_f32 v[186:187], v[42:43], v[186:187]              // 00000000BBFC: D3B140BA 1803752A
	v_mul_f32_dpp v184, v12, v184 row_newbcast:8 row_mask:0xf bank_mask:0xf// 00000000BC04: 0B7170FA FF01580C
	v_mul_f32_dpp v185, v12, v185 row_newbcast:9 row_mask:0xf bank_mask:0xf// 00000000BC0C: 0B7372FA FF01590C
	v_mul_f32_dpp v186, v12, v186 row_newbcast:10 row_mask:0xf bank_mask:0xf// 00000000BC14: 0B7574FA FF015A0C
	v_mul_f32_dpp v187, v12, v187 row_newbcast:11 row_mask:0xf bank_mask:0xf// 00000000BC1C: 0B7776FA FF015B0C
	v_pk_mul_f32 v[184:185], v[44:45], v[184:185]              // 00000000BC24: D3B140B8 1803712C
	v_pk_mul_f32 v[186:187], v[44:45], v[186:187]              // 00000000BC2C: D3B140BA 1803752C
	v_cvt_f32_i32_e32 v192, v192                               // 00000000BC34: 7F800BC0
	v_cvt_f32_i32_e32 v193, v193                               // 00000000BC38: 7F820BC1
	v_cvt_f32_i32_e32 v194, v194                               // 00000000BC3C: 7F840BC2
	v_cvt_f32_i32_e32 v195, v195                               // 00000000BC40: 7F860BC3
	v_pk_mul_f32 v[192:193], v[42:43], v[192:193]              // 00000000BC44: D3B140C0 1803812A
	v_pk_mul_f32 v[194:195], v[42:43], v[194:195]              // 00000000BC4C: D3B140C2 1803852A
	v_mul_f32_dpp v192, v12, v192 row_newbcast:12 row_mask:0xf bank_mask:0xf// 00000000BC54: 0B8180FA FF015C0C
	v_mul_f32_dpp v193, v12, v193 row_newbcast:13 row_mask:0xf bank_mask:0xf// 00000000BC5C: 0B8382FA FF015D0C
	v_mul_f32_dpp v194, v12, v194 row_newbcast:14 row_mask:0xf bank_mask:0xf// 00000000BC64: 0B8584FA FF015E0C
	v_mul_f32_dpp v195, v12, v195 row_newbcast:15 row_mask:0xf bank_mask:0xf// 00000000BC6C: 0B8786FA FF015F0C
	v_pk_mul_f32 v[192:193], v[44:45], v[192:193]              // 00000000BC74: D3B140C0 1803812C
	v_pk_mul_f32 v[194:195], v[44:45], v[194:195]              // 00000000BC7C: D3B140C2 1803852C
	v_mov_b32_e32 v42, v25                                     // 00000000BC84: 7E540319
	v_mov_b32_e32 v44, v21                                     // 00000000BC88: 7E580315
	v_mov_b32_e32 v43, v42                                     // 00000000BC8C: 7E56032A
	v_mov_b32_e32 v45, v44                                     // 00000000BC90: 7E5A032C
	v_cvt_f32_i32_e32 v172, v172                               // 00000000BC94: 7F580BAC
	v_cvt_f32_i32_e32 v173, v173                               // 00000000BC98: 7F5A0BAD
	v_cvt_f32_i32_e32 v174, v174                               // 00000000BC9C: 7F5C0BAE
	v_cvt_f32_i32_e32 v175, v175                               // 00000000BCA0: 7F5E0BAF
	v_pk_mul_f32 v[172:173], v[42:43], v[172:173]              // 00000000BCA4: D3B140AC 1803592A
	v_pk_mul_f32 v[174:175], v[42:43], v[174:175]              // 00000000BCAC: D3B140AE 18035D2A
	v_mul_f32_dpp v172, v12, v172 row_newbcast:0 row_mask:0xf bank_mask:0xf// 00000000BCB4: 0B5958FA FF01500C
	v_mul_f32_dpp v173, v12, v173 row_newbcast:1 row_mask:0xf bank_mask:0xf// 00000000BCBC: 0B5B5AFA FF01510C
	v_mul_f32_dpp v174, v12, v174 row_newbcast:2 row_mask:0xf bank_mask:0xf// 00000000BCC4: 0B5D5CFA FF01520C
	v_mul_f32_dpp v175, v12, v175 row_newbcast:3 row_mask:0xf bank_mask:0xf// 00000000BCCC: 0B5F5EFA FF01530C
	v_pk_mul_f32 v[172:173], v[44:45], v[172:173]              // 00000000BCD4: D3B140AC 1803592C
	v_pk_mul_f32 v[174:175], v[44:45], v[174:175]              // 00000000BCDC: D3B140AE 18035D2C
	v_cvt_f32_i32_e32 v180, v180                               // 00000000BCE4: 7F680BB4
	v_cvt_f32_i32_e32 v181, v181                               // 00000000BCE8: 7F6A0BB5
	v_cvt_f32_i32_e32 v182, v182                               // 00000000BCEC: 7F6C0BB6
	v_cvt_f32_i32_e32 v183, v183                               // 00000000BCF0: 7F6E0BB7
	v_pk_mul_f32 v[180:181], v[42:43], v[180:181]              // 00000000BCF4: D3B140B4 1803692A
	v_pk_mul_f32 v[182:183], v[42:43], v[182:183]              // 00000000BCFC: D3B140B6 18036D2A
	v_mul_f32_dpp v180, v12, v180 row_newbcast:4 row_mask:0xf bank_mask:0xf// 00000000BD04: 0B6968FA FF01540C
	v_mul_f32_dpp v181, v12, v181 row_newbcast:5 row_mask:0xf bank_mask:0xf// 00000000BD0C: 0B6B6AFA FF01550C
	v_mul_f32_dpp v182, v12, v182 row_newbcast:6 row_mask:0xf bank_mask:0xf// 00000000BD14: 0B6D6CFA FF01560C
	v_mul_f32_dpp v183, v12, v183 row_newbcast:7 row_mask:0xf bank_mask:0xf// 00000000BD1C: 0B6F6EFA FF01570C
	v_pk_mul_f32 v[180:181], v[44:45], v[180:181]              // 00000000BD24: D3B140B4 1803692C
	v_pk_mul_f32 v[182:183], v[44:45], v[182:183]              // 00000000BD2C: D3B140B6 18036D2C
	v_cvt_f32_i32_e32 v188, v188                               // 00000000BD34: 7F780BBC
	v_cvt_f32_i32_e32 v189, v189                               // 00000000BD38: 7F7A0BBD
	v_cvt_f32_i32_e32 v190, v190                               // 00000000BD3C: 7F7C0BBE
	v_cvt_f32_i32_e32 v191, v191                               // 00000000BD40: 7F7E0BBF
	v_pk_mul_f32 v[188:189], v[42:43], v[188:189]              // 00000000BD44: D3B140BC 1803792A
	v_pk_mul_f32 v[190:191], v[42:43], v[190:191]              // 00000000BD4C: D3B140BE 18037D2A
	v_mul_f32_dpp v188, v12, v188 row_newbcast:8 row_mask:0xf bank_mask:0xf// 00000000BD54: 0B7978FA FF01580C
	v_mul_f32_dpp v189, v12, v189 row_newbcast:9 row_mask:0xf bank_mask:0xf// 00000000BD5C: 0B7B7AFA FF01590C
	v_mul_f32_dpp v190, v12, v190 row_newbcast:10 row_mask:0xf bank_mask:0xf// 00000000BD64: 0B7D7CFA FF015A0C
	v_mul_f32_dpp v191, v12, v191 row_newbcast:11 row_mask:0xf bank_mask:0xf// 00000000BD6C: 0B7F7EFA FF015B0C
	v_pk_mul_f32 v[188:189], v[44:45], v[188:189]              // 00000000BD74: D3B140BC 1803792C
	v_pk_mul_f32 v[190:191], v[44:45], v[190:191]              // 00000000BD7C: D3B140BE 18037D2C
	v_cvt_f32_i32_e32 v196, v196                               // 00000000BD84: 7F880BC4
	v_cvt_f32_i32_e32 v197, v197                               // 00000000BD88: 7F8A0BC5
	v_cvt_f32_i32_e32 v198, v198                               // 00000000BD8C: 7F8C0BC6
	v_cvt_f32_i32_e32 v199, v199                               // 00000000BD90: 7F8E0BC7
	v_pk_mul_f32 v[196:197], v[42:43], v[196:197]              // 00000000BD94: D3B140C4 1803892A
	v_pk_mul_f32 v[198:199], v[42:43], v[198:199]              // 00000000BD9C: D3B140C6 18038D2A
	v_mul_f32_dpp v196, v12, v196 row_newbcast:12 row_mask:0xf bank_mask:0xf// 00000000BDA4: 0B8988FA FF015C0C
	v_mul_f32_dpp v197, v12, v197 row_newbcast:13 row_mask:0xf bank_mask:0xf// 00000000BDAC: 0B8B8AFA FF015D0C
	v_mul_f32_dpp v198, v12, v198 row_newbcast:14 row_mask:0xf bank_mask:0xf// 00000000BDB4: 0B8D8CFA FF015E0C
	v_mul_f32_dpp v199, v12, v199 row_newbcast:15 row_mask:0xf bank_mask:0xf// 00000000BDBC: 0B8F8EFA FF015F0C
	v_pk_mul_f32 v[196:197], v[44:45], v[196:197]              // 00000000BDC4: D3B140C4 1803892C
	v_pk_mul_f32 v[198:199], v[44:45], v[198:199]              // 00000000BDCC: D3B140C6 18038D2C
	v_cmp_u_f32_e64 s[48:49], v168, v168                       // 00000000BDD4: D0480030 000351A8
	v_add3_u32 v50, v168, v53, 1                               // 00000000BDDC: D1FF0032 02066BA8
	v_cndmask_b32_e64 v42, v50, v52, s[48:49]                  // 00000000BDE4: D100002A 00C26932
	v_cmp_u_f32_e64 s[48:49], v169, v169                       // 00000000BDEC: D0480030 000353A9
	v_add3_u32 v50, v169, v53, 1                               // 00000000BDF4: D1FF0032 02066BA9
	v_cndmask_b32_e64 v43, v50, v52, s[48:49]                  // 00000000BDFC: D100002B 00C26932
	v_perm_b32 v168, v43, v42, s52                             // 00000000BE04: D1ED00A8 00D2552B
	v_cmp_u_f32_e64 s[48:49], v170, v170                       // 00000000BE0C: D0480030 000355AA
	v_add3_u32 v50, v170, v53, 1                               // 00000000BE14: D1FF0032 02066BAA
	v_cndmask_b32_e64 v42, v50, v52, s[48:49]                  // 00000000BE1C: D100002A 00C26932
	v_cmp_u_f32_e64 s[48:49], v171, v171                       // 00000000BE24: D0480030 000357AB
	v_add3_u32 v50, v171, v53, 1                               // 00000000BE2C: D1FF0032 02066BAB
	v_cndmask_b32_e64 v43, v50, v52, s[48:49]                  // 00000000BE34: D100002B 00C26932
	v_perm_b32 v169, v43, v42, s52                             // 00000000BE3C: D1ED00A9 00D2552B
	v_cmp_u_f32_e64 s[48:49], v172, v172                       // 00000000BE44: D0480030 000359AC
	v_add3_u32 v50, v172, v53, 1                               // 00000000BE4C: D1FF0032 02066BAC
	v_cndmask_b32_e64 v42, v50, v52, s[48:49]                  // 00000000BE54: D100002A 00C26932
	v_cmp_u_f32_e64 s[48:49], v173, v173                       // 00000000BE5C: D0480030 00035BAD
	v_add3_u32 v50, v173, v53, 1                               // 00000000BE64: D1FF0032 02066BAD
	v_cndmask_b32_e64 v43, v50, v52, s[48:49]                  // 00000000BE6C: D100002B 00C26932
	v_perm_b32 v170, v43, v42, s52                             // 00000000BE74: D1ED00AA 00D2552B
	v_cmp_u_f32_e64 s[48:49], v174, v174                       // 00000000BE7C: D0480030 00035DAE
	v_add3_u32 v50, v174, v53, 1                               // 00000000BE84: D1FF0032 02066BAE
	v_cndmask_b32_e64 v42, v50, v52, s[48:49]                  // 00000000BE8C: D100002A 00C26932
	v_cmp_u_f32_e64 s[48:49], v175, v175                       // 00000000BE94: D0480030 00035FAF
	v_add3_u32 v50, v175, v53, 1                               // 00000000BE9C: D1FF0032 02066BAF
	v_cndmask_b32_e64 v43, v50, v52, s[48:49]                  // 00000000BEA4: D100002B 00C26932
	v_perm_b32 v171, v43, v42, s52                             // 00000000BEAC: D1ED00AB 00D2552B
	v_cmp_u_f32_e64 s[48:49], v176, v176                       // 00000000BEB4: D0480030 000361B0
	v_add3_u32 v50, v176, v53, 1                               // 00000000BEBC: D1FF0032 02066BB0
	v_cndmask_b32_e64 v42, v50, v52, s[48:49]                  // 00000000BEC4: D100002A 00C26932
	v_cmp_u_f32_e64 s[48:49], v177, v177                       // 00000000BECC: D0480030 000363B1
	v_add3_u32 v50, v177, v53, 1                               // 00000000BED4: D1FF0032 02066BB1
	v_cndmask_b32_e64 v43, v50, v52, s[48:49]                  // 00000000BEDC: D100002B 00C26932
	v_perm_b32 v172, v43, v42, s52                             // 00000000BEE4: D1ED00AC 00D2552B
	v_cmp_u_f32_e64 s[48:49], v178, v178                       // 00000000BEEC: D0480030 000365B2
	v_add3_u32 v50, v178, v53, 1                               // 00000000BEF4: D1FF0032 02066BB2
	v_cndmask_b32_e64 v42, v50, v52, s[48:49]                  // 00000000BEFC: D100002A 00C26932
	v_cmp_u_f32_e64 s[48:49], v179, v179                       // 00000000BF04: D0480030 000367B3
	v_add3_u32 v50, v179, v53, 1                               // 00000000BF0C: D1FF0032 02066BB3
	v_cndmask_b32_e64 v43, v50, v52, s[48:49]                  // 00000000BF14: D100002B 00C26932
	v_perm_b32 v173, v43, v42, s52                             // 00000000BF1C: D1ED00AD 00D2552B
	v_cmp_u_f32_e64 s[48:49], v180, v180                       // 00000000BF24: D0480030 000369B4
	v_add3_u32 v50, v180, v53, 1                               // 00000000BF2C: D1FF0032 02066BB4
	v_cndmask_b32_e64 v42, v50, v52, s[48:49]                  // 00000000BF34: D100002A 00C26932
	v_cmp_u_f32_e64 s[48:49], v181, v181                       // 00000000BF3C: D0480030 00036BB5
	v_add3_u32 v50, v181, v53, 1                               // 00000000BF44: D1FF0032 02066BB5
	v_cndmask_b32_e64 v43, v50, v52, s[48:49]                  // 00000000BF4C: D100002B 00C26932
	v_perm_b32 v174, v43, v42, s52                             // 00000000BF54: D1ED00AE 00D2552B
	v_cmp_u_f32_e64 s[48:49], v182, v182                       // 00000000BF5C: D0480030 00036DB6
	v_add3_u32 v50, v182, v53, 1                               // 00000000BF64: D1FF0032 02066BB6
	v_cndmask_b32_e64 v42, v50, v52, s[48:49]                  // 00000000BF6C: D100002A 00C26932
	v_cmp_u_f32_e64 s[48:49], v183, v183                       // 00000000BF74: D0480030 00036FB7
	v_add3_u32 v50, v183, v53, 1                               // 00000000BF7C: D1FF0032 02066BB7
	v_cndmask_b32_e64 v43, v50, v52, s[48:49]                  // 00000000BF84: D100002B 00C26932
	v_perm_b32 v175, v43, v42, s52                             // 00000000BF8C: D1ED00AF 00D2552B
	v_cmp_u_f32_e64 s[48:49], v184, v184                       // 00000000BF94: D0480030 000371B8
	v_add3_u32 v50, v184, v53, 1                               // 00000000BF9C: D1FF0032 02066BB8
	v_cndmask_b32_e64 v42, v50, v52, s[48:49]                  // 00000000BFA4: D100002A 00C26932
	v_cmp_u_f32_e64 s[48:49], v185, v185                       // 00000000BFAC: D0480030 000373B9
	v_add3_u32 v50, v185, v53, 1                               // 00000000BFB4: D1FF0032 02066BB9
	v_cndmask_b32_e64 v43, v50, v52, s[48:49]                  // 00000000BFBC: D100002B 00C26932
	v_perm_b32 v176, v43, v42, s52                             // 00000000BFC4: D1ED00B0 00D2552B
	v_cmp_u_f32_e64 s[48:49], v186, v186                       // 00000000BFCC: D0480030 000375BA
	v_add3_u32 v50, v186, v53, 1                               // 00000000BFD4: D1FF0032 02066BBA
	v_cndmask_b32_e64 v42, v50, v52, s[48:49]                  // 00000000BFDC: D100002A 00C26932
	v_cmp_u_f32_e64 s[48:49], v187, v187                       // 00000000BFE4: D0480030 000377BB
	v_add3_u32 v50, v187, v53, 1                               // 00000000BFEC: D1FF0032 02066BBB
	v_cndmask_b32_e64 v43, v50, v52, s[48:49]                  // 00000000BFF4: D100002B 00C26932
	v_perm_b32 v177, v43, v42, s52                             // 00000000BFFC: D1ED00B1 00D2552B
	v_cmp_u_f32_e64 s[48:49], v188, v188                       // 00000000C004: D0480030 000379BC
	v_add3_u32 v50, v188, v53, 1                               // 00000000C00C: D1FF0032 02066BBC
	v_cndmask_b32_e64 v42, v50, v52, s[48:49]                  // 00000000C014: D100002A 00C26932
	v_cmp_u_f32_e64 s[48:49], v189, v189                       // 00000000C01C: D0480030 00037BBD
	v_add3_u32 v50, v189, v53, 1                               // 00000000C024: D1FF0032 02066BBD
	v_cndmask_b32_e64 v43, v50, v52, s[48:49]                  // 00000000C02C: D100002B 00C26932
	v_perm_b32 v178, v43, v42, s52                             // 00000000C034: D1ED00B2 00D2552B
	v_cmp_u_f32_e64 s[48:49], v190, v190                       // 00000000C03C: D0480030 00037DBE
	v_add3_u32 v50, v190, v53, 1                               // 00000000C044: D1FF0032 02066BBE
	v_cndmask_b32_e64 v42, v50, v52, s[48:49]                  // 00000000C04C: D100002A 00C26932
	v_cmp_u_f32_e64 s[48:49], v191, v191                       // 00000000C054: D0480030 00037FBF
	v_add3_u32 v50, v191, v53, 1                               // 00000000C05C: D1FF0032 02066BBF
	v_cndmask_b32_e64 v43, v50, v52, s[48:49]                  // 00000000C064: D100002B 00C26932
	v_perm_b32 v179, v43, v42, s52                             // 00000000C06C: D1ED00B3 00D2552B
	v_cmp_u_f32_e64 s[48:49], v192, v192                       // 00000000C074: D0480030 000381C0
	v_add3_u32 v50, v192, v53, 1                               // 00000000C07C: D1FF0032 02066BC0
	v_cndmask_b32_e64 v42, v50, v52, s[48:49]                  // 00000000C084: D100002A 00C26932
	v_cmp_u_f32_e64 s[48:49], v193, v193                       // 00000000C08C: D0480030 000383C1
	v_add3_u32 v50, v193, v53, 1                               // 00000000C094: D1FF0032 02066BC1
	v_cndmask_b32_e64 v43, v50, v52, s[48:49]                  // 00000000C09C: D100002B 00C26932
	v_perm_b32 v180, v43, v42, s52                             // 00000000C0A4: D1ED00B4 00D2552B
	v_cmp_u_f32_e64 s[48:49], v194, v194                       // 00000000C0AC: D0480030 000385C2
	v_add3_u32 v50, v194, v53, 1                               // 00000000C0B4: D1FF0032 02066BC2
	v_cndmask_b32_e64 v42, v50, v52, s[48:49]                  // 00000000C0BC: D100002A 00C26932
	v_cmp_u_f32_e64 s[48:49], v195, v195                       // 00000000C0C4: D0480030 000387C3
	v_add3_u32 v50, v195, v53, 1                               // 00000000C0CC: D1FF0032 02066BC3
	v_cndmask_b32_e64 v43, v50, v52, s[48:49]                  // 00000000C0D4: D100002B 00C26932
	v_perm_b32 v181, v43, v42, s52                             // 00000000C0DC: D1ED00B5 00D2552B
	v_cmp_u_f32_e64 s[48:49], v196, v196                       // 00000000C0E4: D0480030 000389C4
	v_add3_u32 v50, v196, v53, 1                               // 00000000C0EC: D1FF0032 02066BC4
	v_cndmask_b32_e64 v42, v50, v52, s[48:49]                  // 00000000C0F4: D100002A 00C26932
	v_cmp_u_f32_e64 s[48:49], v197, v197                       // 00000000C0FC: D0480030 00038BC5
	v_add3_u32 v50, v197, v53, 1                               // 00000000C104: D1FF0032 02066BC5
	v_cndmask_b32_e64 v43, v50, v52, s[48:49]                  // 00000000C10C: D100002B 00C26932
	v_perm_b32 v182, v43, v42, s52                             // 00000000C114: D1ED00B6 00D2552B
	v_cmp_u_f32_e64 s[48:49], v198, v198                       // 00000000C11C: D0480030 00038DC6
	v_add3_u32 v50, v198, v53, 1                               // 00000000C124: D1FF0032 02066BC6
	v_cndmask_b32_e64 v42, v50, v52, s[48:49]                  // 00000000C12C: D100002A 00C26932
	v_cmp_u_f32_e64 s[48:49], v199, v199                       // 00000000C134: D0480030 00038FC7
	v_add3_u32 v50, v199, v53, 1                               // 00000000C13C: D1FF0032 02066BC7
	v_cndmask_b32_e64 v43, v50, v52, s[48:49]                  // 00000000C144: D100002B 00C26932
	v_perm_b32 v183, v43, v42, s52                             // 00000000C14C: D1ED00B7 00D2552B
	s_cmp_ge_u32 s80, 0x200                                    // 00000000C154: BF09FF50 00000200
	s_cselect_b32 s59, 0x200, s59                              // 00000000C15C: 853B3BFF 00000200
	s_setvskip s20, 0                                          // 00000000C164: BF108014
	global_atomic_pk_add_bf16 v80, v64, s[8:9]                 // 00000000C168: DD488000 00084050
	s_setvskip 0, 0                                            // 00000000C170: BF108080
	s_setvskip s20, 0                                          // 00000000C174: BF108014
	global_atomic_pk_add_bf16 v80, v65, s[8:9] offset:256      // 00000000C178: DD488100 00084150
	s_setvskip 0, 0                                            // 00000000C180: BF108080
	s_setvskip s20, 1                                          // 00000000C184: BF108114
	global_atomic_pk_add_bf16 v82, v66, s[8:9]                 // 00000000C188: DD488000 00084252
	s_setvskip 0, 0                                            // 00000000C190: BF108080
	s_setvskip s20, 1                                          // 00000000C194: BF108114
	global_atomic_pk_add_bf16 v82, v67, s[8:9] offset:256      // 00000000C198: DD488100 00084352
	s_setvskip 0, 0                                            // 00000000C1A0: BF108080
	s_setvskip s20, 2                                          // 00000000C1A4: BF108214
	global_atomic_pk_add_bf16 v84, v68, s[8:9]                 // 00000000C1A8: DD488000 00084454
	s_setvskip 0, 0                                            // 00000000C1B0: BF108080
	s_setvskip s20, 2                                          // 00000000C1B4: BF108214
	global_atomic_pk_add_bf16 v84, v69, s[8:9] offset:256      // 00000000C1B8: DD488100 00084554
	s_setvskip 0, 0                                            // 00000000C1C0: BF108080
	s_setvskip s20, 3                                          // 00000000C1C4: BF108314
	global_atomic_pk_add_bf16 v86, v70, s[8:9]                 // 00000000C1C8: DD488000 00084656
	s_setvskip 0, 0                                            // 00000000C1D0: BF108080
	s_setvskip s20, 3                                          // 00000000C1D4: BF108314
	global_atomic_pk_add_bf16 v86, v71, s[8:9] offset:256      // 00000000C1D8: DD488100 00084756
	s_setvskip 0, 0                                            // 00000000C1E0: BF108080
	s_setvskip s20, 4                                          // 00000000C1E4: BF108414
	global_atomic_pk_add_bf16 v88, v72, s[8:9]                 // 00000000C1E8: DD488000 00084858
	s_setvskip 0, 0                                            // 00000000C1F0: BF108080
	s_setvskip s20, 4                                          // 00000000C1F4: BF108414
	global_atomic_pk_add_bf16 v88, v73, s[8:9] offset:256      // 00000000C1F8: DD488100 00084958
	s_setvskip 0, 0                                            // 00000000C200: BF108080
	s_setvskip s20, 5                                          // 00000000C204: BF108514
	global_atomic_pk_add_bf16 v90, v74, s[8:9]                 // 00000000C208: DD488000 00084A5A
	s_setvskip 0, 0                                            // 00000000C210: BF108080
	s_setvskip s20, 5                                          // 00000000C214: BF108514
	global_atomic_pk_add_bf16 v90, v75, s[8:9] offset:256      // 00000000C218: DD488100 00084B5A
	s_setvskip 0, 0                                            // 00000000C220: BF108080
	s_setvskip s20, 6                                          // 00000000C224: BF108614
	global_atomic_pk_add_bf16 v92, v76, s[8:9]                 // 00000000C228: DD488000 00084C5C
	s_setvskip 0, 0                                            // 00000000C230: BF108080
	s_setvskip s20, 6                                          // 00000000C234: BF108614
	global_atomic_pk_add_bf16 v92, v77, s[8:9] offset:256      // 00000000C238: DD488100 00084D5C
	s_setvskip 0, 0                                            // 00000000C240: BF108080
	s_setvskip s20, 7                                          // 00000000C244: BF108714
	global_atomic_pk_add_bf16 v94, v78, s[8:9]                 // 00000000C248: DD488000 00084E5E
	s_setvskip 0, 0                                            // 00000000C250: BF108080
	s_setvskip s20, 7                                          // 00000000C254: BF108714
	global_atomic_pk_add_bf16 v94, v79, s[8:9] offset:256      // 00000000C258: DD488100 00084F5E
	s_setvskip 0, 0                                            // 00000000C260: BF108080
	s_add_u32 s8, s59, s8                                      // 00000000C264: 8008083B
	s_addc_u32 s9, 0, s9                                       // 00000000C268: 82090980
	s_addk_i32 s80, 0x100                                      // 00000000C26C: B7500100
	s_cmp_lt_i32 s80, s81                                      // 00000000C270: BF045150
	s_cbranch_scc0 label_165C                                  // 00000000C274: BF84F07E
	s_waitcnt vmcnt(17) lgkmcnt(0)                             // 00000000C278: BF8C4071
	s_barrier                                                  // 00000000C27C: BF8A0000
	v_mfma_i32_16x16x32_i8 v[200:203], a[80:81], v[128:129], 0 // 00000000C280: D3D700C8 0A030150
	buffer_load_dwordx4 a[0:3], v46, s[12:15], 0 offen         // 00000000C288: E05C1000 8083002E
	v_mfma_i32_16x16x32_i8 v[200:203], a[82:83], v[130:131], v[200:203]// 00000000C290: D3D700C8 0F230552
	ds_read_b32 v64, v4 offset:19456                           // 00000000C298: D86C4C00 40000004
	ds_read_b32 v65, v4 offset:23808                           // 00000000C2A0: D86C5D00 41000004
	v_mfma_i32_16x16x32_i8 v[204:207], a[80:81], v[148:149], 0 // 00000000C2A8: D3D700CC 0A032950
	v_mfma_i32_16x16x32_i8 v[204:207], a[82:83], v[150:151], v[204:207]// 00000000C2B0: D3D700CC 0F332D52
	ds_read_b32 v66, v4 offset:19488                           // 00000000C2B8: D86C4C20 42000004
	ds_read_b32 v67, v4 offset:23840                           // 00000000C2C0: D86C5D20 43000004
	v_mfma_i32_16x16x32_i8 v[208:211], a[84:85], v[128:129], 0 // 00000000C2C8: D3D700D0 0A030154
	buffer_load_dwordx4 a[4:7], v47, s[12:15], 0 offen         // 00000000C2D0: E05C1000 8083042F
	v_mfma_i32_16x16x32_i8 v[208:211], a[86:87], v[130:131], v[208:211]// 00000000C2D8: D3D700D0 0F430556
	ds_read_b32 v68, v4 offset:19520                           // 00000000C2E0: D86C4C40 44000004
	ds_read_b32 v69, v4 offset:23872                           // 00000000C2E8: D86C5D40 45000004
	v_mfma_i32_16x16x32_i8 v[212:215], a[84:85], v[148:149], 0 // 00000000C2F0: D3D700D4 0A032954
	v_mfma_i32_16x16x32_i8 v[212:215], a[86:87], v[150:151], v[212:215]// 00000000C2F8: D3D700D4 0F532D56
	ds_read_b32 v70, v4 offset:19552                           // 00000000C300: D86C4C60 46000004
	ds_read_b32 v71, v4 offset:23904                           // 00000000C308: D86C5D60 47000004
	v_mfma_i32_16x16x32_i8 v[216:219], a[88:89], v[128:129], 0 // 00000000C310: D3D700D8 0A030158
	buffer_load_dwordx4 a[8:11], v48, s[12:15], 0 offen        // 00000000C318: E05C1000 80830830
	v_mfma_i32_16x16x32_i8 v[216:219], a[90:91], v[130:131], v[216:219]// 00000000C320: D3D700D8 0F63055A
	ds_read_b32 v72, v4 offset:28160                           // 00000000C328: D86C6E00 48000004
	ds_read_b32 v73, v4 offset:32512                           // 00000000C330: D86C7F00 49000004
	v_mfma_i32_16x16x32_i8 v[220:223], a[88:89], v[148:149], 0 // 00000000C338: D3D700DC 0A032958
	v_mfma_i32_16x16x32_i8 v[220:223], a[90:91], v[150:151], v[220:223]// 00000000C340: D3D700DC 0F732D5A
	ds_read_b32 v74, v4 offset:28192                           // 00000000C348: D86C6E20 4A000004
	ds_read_b32 v75, v4 offset:32544                           // 00000000C350: D86C7F20 4B000004
	v_mfma_i32_16x16x32_i8 v[224:227], a[92:93], v[128:129], 0 // 00000000C358: D3D700E0 0A03015C
	buffer_load_dwordx4 a[12:15], v49, s[12:15], 0 offen       // 00000000C360: E05C1000 80830C31
	s_add_u32 s12, s78, s12                                    // 00000000C368: 800C0C4E
	s_addc_u32 s13, 0, s13                                     // 00000000C36C: 820D0D80
	v_mfma_i32_16x16x32_i8 v[224:227], a[94:95], v[130:131], v[224:227]// 00000000C370: D3D700E0 0F83055E
	ds_read_b32 v76, v4 offset:28224                           // 00000000C378: D86C6E40 4C000004
	ds_read_b32 v77, v4 offset:32576                           // 00000000C380: D86C7F40 4D000004
	v_mfma_i32_16x16x32_i8 v[228:231], a[92:93], v[148:149], 0 // 00000000C388: D3D700E4 0A03295C
	v_mfma_i32_16x16x32_i8 v[228:231], a[94:95], v[150:151], v[228:231]// 00000000C390: D3D700E4 0F932D5E
	ds_read_b32 v78, v4 offset:28256                           // 00000000C398: D86C6E60 4E000004
	ds_read_b32 v79, v4 offset:32608                           // 00000000C3A0: D86C7F60 4F000004
	s_waitcnt vmcnt(17)                                        // 00000000C3A8: BF8C4F71
	v_mfma_i32_16x16x32_i8 v[200:203], a[96:97], v[132:133], v[200:203]// 00000000C3AC: D3D700C8 0F230960
	buffer_load_dwordx4 a[16:19], v46, s[12:15], 0 offen       // 00000000C3B4: E05C1000 8083102E
	v_mfma_i32_16x16x32_i8 v[200:203], a[98:99], v[134:135], v[200:203]// 00000000C3BC: D3D700C8 0F230D62
	v_mfma_i32_16x16x32_i8 v[204:207], a[96:97], v[152:153], v[204:207]// 00000000C3C4: D3D700CC 0F333160
	v_mfma_i32_16x16x32_i8 v[204:207], a[98:99], v[154:155], v[204:207]// 00000000C3CC: D3D700CC 0F333562
	v_mfma_i32_16x16x32_i8 v[208:211], a[100:101], v[132:133], v[208:211]// 00000000C3D4: D3D700D0 0F430964
	buffer_load_dwordx4 a[20:23], v47, s[12:15], 0 offen       // 00000000C3DC: E05C1000 8083142F
	v_mfma_i32_16x16x32_i8 v[208:211], a[102:103], v[134:135], v[208:211]// 00000000C3E4: D3D700D0 0F430D66
	v_mfma_i32_16x16x32_i8 v[212:215], a[100:101], v[152:153], v[212:215]// 00000000C3EC: D3D700D4 0F533164
	v_mfma_i32_16x16x32_i8 v[212:215], a[102:103], v[154:155], v[212:215]// 00000000C3F4: D3D700D4 0F533566
	v_mfma_i32_16x16x32_i8 v[216:219], a[104:105], v[132:133], v[216:219]// 00000000C3FC: D3D700D8 0F630968
	buffer_load_dwordx4 a[24:27], v48, s[12:15], 0 offen       // 00000000C404: E05C1000 80831830
	v_mfma_i32_16x16x32_i8 v[216:219], a[106:107], v[134:135], v[216:219]// 00000000C40C: D3D700D8 0F630D6A
	v_mfma_i32_16x16x32_i8 v[220:223], a[104:105], v[152:153], v[220:223]// 00000000C414: D3D700DC 0F733168
	v_mfma_i32_16x16x32_i8 v[220:223], a[106:107], v[154:155], v[220:223]// 00000000C41C: D3D700DC 0F73356A
	v_mfma_i32_16x16x32_i8 v[224:227], a[108:109], v[132:133], v[224:227]// 00000000C424: D3D700E0 0F83096C
	buffer_load_dwordx4 a[28:31], v49, s[12:15], 0 offen       // 00000000C42C: E05C1000 80831C31
	s_add_u32 s12, s78, s12                                    // 00000000C434: 800C0C4E
	s_addc_u32 s13, 0, s13                                     // 00000000C438: 820D0D80
	v_mfma_i32_16x16x32_i8 v[224:227], a[110:111], v[134:135], v[224:227]// 00000000C43C: D3D700E0 0F830D6E
	v_mfma_i32_16x16x32_i8 v[228:231], a[108:109], v[152:153], v[228:231]// 00000000C444: D3D700E4 0F93316C
	v_mfma_i32_16x16x32_i8 v[228:231], a[110:111], v[154:155], v[228:231]// 00000000C44C: D3D700E4 0F93356E
	s_waitcnt vmcnt(17)                                        // 00000000C454: BF8C4F71
	v_mfma_i32_16x16x32_i8 v[200:203], a[112:113], v[136:137], v[200:203]// 00000000C458: D3D700C8 0F231170
	buffer_load_dwordx4 a[32:35], v46, s[12:15], 0 offen       // 00000000C460: E05C1000 8083202E
	v_mfma_i32_16x16x32_i8 v[200:203], a[114:115], v[138:139], v[200:203]// 00000000C468: D3D700C8 0F231572
	ds_write_b64 v3, v[168:169] offset:2048                    // 00000000C470: D89A0800 0000A803
	v_mfma_i32_16x16x32_i8 v[204:207], a[112:113], v[156:157], v[204:207]// 00000000C478: D3D700CC 0F333970
	v_mfma_i32_16x16x32_i8 v[204:207], a[114:115], v[158:159], v[204:207]// 00000000C480: D3D700CC 0F333D72
	ds_write_b64 v3, v[170:171] offset:10752                   // 00000000C488: D89A2A00 0000AA03
	v_mfma_i32_16x16x32_i8 v[208:211], a[116:117], v[136:137], v[208:211]// 00000000C490: D3D700D0 0F431174
	buffer_load_dwordx4 a[36:39], v47, s[12:15], 0 offen       // 00000000C498: E05C1000 8083242F
	v_mfma_i32_16x16x32_i8 v[208:211], a[118:119], v[138:139], v[208:211]// 00000000C4A0: D3D700D0 0F431576
	ds_write_b64 v3, v[172:173] offset:4224                    // 00000000C4A8: D89A1080 0000AC03
	v_mfma_i32_16x16x32_i8 v[212:215], a[116:117], v[156:157], v[212:215]// 00000000C4B0: D3D700D4 0F533974
	v_mfma_i32_16x16x32_i8 v[212:215], a[118:119], v[158:159], v[212:215]// 00000000C4B8: D3D700D4 0F533D76
	ds_write_b64 v3, v[174:175] offset:12928                   // 00000000C4C0: D89A3280 0000AE03
	v_mfma_i32_16x16x32_i8 v[216:219], a[120:121], v[136:137], v[216:219]// 00000000C4C8: D3D700D8 0F631178
	buffer_load_dwordx4 a[40:43], v48, s[12:15], 0 offen       // 00000000C4D0: E05C1000 80832830
	v_mfma_i32_16x16x32_i8 v[216:219], a[122:123], v[138:139], v[216:219]// 00000000C4D8: D3D700D8 0F63157A
	ds_write_b64 v3, v[176:177] offset:6400                    // 00000000C4E0: D89A1900 0000B003
	v_mfma_i32_16x16x32_i8 v[220:223], a[120:121], v[156:157], v[220:223]// 00000000C4E8: D3D700DC 0F733978
	v_mfma_i32_16x16x32_i8 v[220:223], a[122:123], v[158:159], v[220:223]// 00000000C4F0: D3D700DC 0F733D7A
	ds_write_b64 v3, v[178:179] offset:15104                   // 00000000C4F8: D89A3B00 0000B203
	v_mfma_i32_16x16x32_i8 v[224:227], a[124:125], v[136:137], v[224:227]// 00000000C500: D3D700E0 0F83117C
	buffer_load_dwordx4 a[44:47], v49, s[12:15], 0 offen       // 00000000C508: E05C1000 80832C31
	s_add_u32 s12, s78, s12                                    // 00000000C510: 800C0C4E
	s_addc_u32 s13, 0, s13                                     // 00000000C514: 820D0D80
	v_mfma_i32_16x16x32_i8 v[224:227], a[126:127], v[138:139], v[224:227]// 00000000C518: D3D700E0 0F83157E
	ds_write_b64 v3, v[180:181] offset:8576                    // 00000000C520: D89A2180 0000B403
	v_mfma_i32_16x16x32_i8 v[228:231], a[124:125], v[156:157], v[228:231]// 00000000C528: D3D700E4 0F93397C
	v_mfma_i32_16x16x32_i8 v[228:231], a[126:127], v[158:159], v[228:231]// 00000000C530: D3D700E4 0F933D7E
	ds_write_b64 v3, v[182:183] offset:17280                   // 00000000C538: D89A4380 0000B603
	s_waitcnt vmcnt(17)                                        // 00000000C540: BF8C4F71
	v_mfma_i32_16x16x32_i8 v[200:203], a[128:129], v[140:141], v[200:203]// 00000000C544: D3D700C8 0F231980
	buffer_load_dwordx4 a[48:51], v46, s[12:15], 0 offen       // 00000000C54C: E05C1000 8083302E
	v_mfma_i32_16x16x32_i8 v[200:203], a[130:131], v[142:143], v[200:203]// 00000000C554: D3D700C8 0F231D82
	v_mfma_i32_16x16x32_i8 v[204:207], a[128:129], v[160:161], v[204:207]// 00000000C55C: D3D700CC 0F334180
	v_mfma_i32_16x16x32_i8 v[204:207], a[130:131], v[162:163], v[204:207]// 00000000C564: D3D700CC 0F334582
	v_mfma_i32_16x16x32_i8 v[208:211], a[132:133], v[140:141], v[208:211]// 00000000C56C: D3D700D0 0F431984
	buffer_load_dwordx4 a[52:55], v47, s[12:15], 0 offen       // 00000000C574: E05C1000 8083342F
	v_mfma_i32_16x16x32_i8 v[208:211], a[134:135], v[142:143], v[208:211]// 00000000C57C: D3D700D0 0F431D86
	v_mfma_i32_16x16x32_i8 v[212:215], a[132:133], v[160:161], v[212:215]// 00000000C584: D3D700D4 0F534184
	v_mfma_i32_16x16x32_i8 v[212:215], a[134:135], v[162:163], v[212:215]// 00000000C58C: D3D700D4 0F534586
	v_mfma_i32_16x16x32_i8 v[216:219], a[136:137], v[140:141], v[216:219]// 00000000C594: D3D700D8 0F631988
	buffer_load_dwordx4 a[56:59], v48, s[12:15], 0 offen       // 00000000C59C: E05C1000 80833830
	v_mfma_i32_16x16x32_i8 v[216:219], a[138:139], v[142:143], v[216:219]// 00000000C5A4: D3D700D8 0F631D8A
	v_mfma_i32_16x16x32_i8 v[220:223], a[136:137], v[160:161], v[220:223]// 00000000C5AC: D3D700DC 0F734188
	v_mfma_i32_16x16x32_i8 v[220:223], a[138:139], v[162:163], v[220:223]// 00000000C5B4: D3D700DC 0F73458A
	v_mfma_i32_16x16x32_i8 v[224:227], a[140:141], v[140:141], v[224:227]// 00000000C5BC: D3D700E0 0F83198C
	buffer_load_dwordx4 a[60:63], v49, s[12:15], 0 offen       // 00000000C5C4: E05C1000 80833C31
	s_add_u32 s12, s78, s12                                    // 00000000C5CC: 800C0C4E
	s_addc_u32 s13, 0, s13                                     // 00000000C5D0: 820D0D80
	v_mfma_i32_16x16x32_i8 v[224:227], a[142:143], v[142:143], v[224:227]// 00000000C5D4: D3D700E0 0F831D8E
	v_mfma_i32_16x16x32_i8 v[228:231], a[140:141], v[160:161], v[228:231]// 00000000C5DC: D3D700E4 0F93418C
	v_mfma_i32_16x16x32_i8 v[228:231], a[142:143], v[162:163], v[228:231]// 00000000C5E4: D3D700E4 0F93458E
	s_waitcnt vmcnt(16)                                        // 00000000C5EC: BF8C4F70
	v_mfma_i32_16x16x32_i8 v[200:203], a[144:145], v[144:145], v[200:203]// 00000000C5F0: D3D700C8 0F232190
	buffer_load_dwordx4 a[64:67], v46, s[12:15], 0 offen       // 00000000C5F8: E05C1000 8083402E
	v_mfma_i32_16x16x32_i8 v[200:203], a[146:147], v[146:147], v[200:203]// 00000000C600: D3D700C8 0F232592
	v_mfma_i32_16x16x32_i8 v[204:207], a[144:145], v[164:165], v[204:207]// 00000000C608: D3D700CC 0F334990
	buffer_load_dword v12, v5, s[16:19], 0 offen               // 00000000C610: E0501000 80040C05
	v_mfma_i32_16x16x32_i8 v[204:207], a[146:147], v[166:167], v[204:207]// 00000000C618: D3D700CC 0F334D92
	v_mfma_i32_16x16x32_i8 v[208:211], a[148:149], v[144:145], v[208:211]// 00000000C620: D3D700D0 0F432194
	buffer_load_dwordx4 a[68:71], v47, s[12:15], 0 offen       // 00000000C628: E05C1000 8083442F
	v_mfma_i32_16x16x32_i8 v[208:211], a[150:151], v[146:147], v[208:211]// 00000000C630: D3D700D0 0F432596
	v_mfma_i32_16x16x32_i8 v[212:215], a[148:149], v[164:165], v[212:215]// 00000000C638: D3D700D4 0F534994
	v_mfma_i32_16x16x32_i8 v[212:215], a[150:151], v[166:167], v[212:215]// 00000000C640: D3D700D4 0F534D96
	v_mfma_i32_16x16x32_i8 v[216:219], a[152:153], v[144:145], v[216:219]// 00000000C648: D3D700D8 0F632198
	buffer_load_dwordx4 a[72:75], v48, s[12:15], 0 offen       // 00000000C650: E05C1000 80834830
	v_mfma_i32_16x16x32_i8 v[216:219], a[154:155], v[146:147], v[216:219]// 00000000C658: D3D700D8 0F63259A
	v_mfma_i32_16x16x32_i8 v[220:223], a[152:153], v[164:165], v[220:223]// 00000000C660: D3D700DC 0F734998
	v_mfma_i32_16x16x32_i8 v[220:223], a[154:155], v[166:167], v[220:223]// 00000000C668: D3D700DC 0F734D9A
	v_mfma_i32_16x16x32_i8 v[224:227], a[156:157], v[144:145], v[224:227]// 00000000C670: D3D700E0 0F83219C
	buffer_load_dwordx4 a[76:79], v49, s[12:15], 0 offen       // 00000000C678: E05C1000 80834C31
	v_mfma_i32_16x16x32_i8 v[224:227], a[158:159], v[146:147], v[224:227]// 00000000C680: D3D700E0 0F83259E
	v_mfma_i32_16x16x32_i8 v[228:231], a[156:157], v[164:165], v[228:231]// 00000000C688: D3D700E4 0F93499C
	v_mfma_i32_16x16x32_i8 v[228:231], a[158:159], v[166:167], v[228:231]// 00000000C690: D3D700E4 0F934D9E
	s_add_u32 s60, 0x200, s80                                  // 00000000C698: 803C50FF 00000200
	s_cmp_lt_u32 s60, s81                                      // 00000000C6A0: BF0A513C
	s_cselect_b32 s56, s56, 0                                  // 00000000C6A4: 85388038
	s_cselect_b32 s78, s78, 0                                  // 00000000C6A8: 854E804E
	s_cselect_b32 s79, s79, 0                                  // 00000000C6AC: 854F804F
	s_add_u32 s12, s56, s12                                    // 00000000C6B0: 800C0C38
	s_addc_u32 s13, 0, s13                                     // 00000000C6B4: 820D0D80
	s_add_u32 s16, s79, s16                                    // 00000000C6B8: 8010104F
	s_addc_u32 s17, 0, s17                                     // 00000000C6BC: 82111180
	v_mov_b32_e32 v42, v24                                     // 00000000C6C0: 7E540318
	v_mov_b32_e32 v44, v20                                     // 00000000C6C4: 7E580314
	v_mov_b32_e32 v43, v42                                     // 00000000C6C8: 7E56032A
	v_mov_b32_e32 v45, v44                                     // 00000000C6CC: 7E5A032C
	v_cvt_f32_i32_e32 v200, v200                               // 00000000C6D0: 7F900BC8
	v_cvt_f32_i32_e32 v201, v201                               // 00000000C6D4: 7F920BC9
	v_cvt_f32_i32_e32 v202, v202                               // 00000000C6D8: 7F940BCA
	v_cvt_f32_i32_e32 v203, v203                               // 00000000C6DC: 7F960BCB
	v_pk_mul_f32 v[200:201], v[42:43], v[200:201]              // 00000000C6E0: D3B140C8 1803912A
	v_pk_mul_f32 v[202:203], v[42:43], v[202:203]              // 00000000C6E8: D3B140CA 1803952A
	v_mul_f32_dpp v200, v13, v200 row_newbcast:0 row_mask:0xf bank_mask:0xf// 00000000C6F0: 0B9190FA FF01500D
	v_mul_f32_dpp v201, v13, v201 row_newbcast:1 row_mask:0xf bank_mask:0xf// 00000000C6F8: 0B9392FA FF01510D
	v_mul_f32_dpp v202, v13, v202 row_newbcast:2 row_mask:0xf bank_mask:0xf// 00000000C700: 0B9594FA FF01520D
	v_mul_f32_dpp v203, v13, v203 row_newbcast:3 row_mask:0xf bank_mask:0xf// 00000000C708: 0B9796FA FF01530D
	v_pk_mul_f32 v[200:201], v[44:45], v[200:201]              // 00000000C710: D3B140C8 1803912C
	v_pk_mul_f32 v[202:203], v[44:45], v[202:203]              // 00000000C718: D3B140CA 1803952C
	v_cvt_f32_i32_e32 v208, v208                               // 00000000C720: 7FA00BD0
	v_cvt_f32_i32_e32 v209, v209                               // 00000000C724: 7FA20BD1
	v_cvt_f32_i32_e32 v210, v210                               // 00000000C728: 7FA40BD2
	v_cvt_f32_i32_e32 v211, v211                               // 00000000C72C: 7FA60BD3
	v_pk_mul_f32 v[208:209], v[42:43], v[208:209]              // 00000000C730: D3B140D0 1803A12A
	v_pk_mul_f32 v[210:211], v[42:43], v[210:211]              // 00000000C738: D3B140D2 1803A52A
	v_mul_f32_dpp v208, v13, v208 row_newbcast:4 row_mask:0xf bank_mask:0xf// 00000000C740: 0BA1A0FA FF01540D
	v_mul_f32_dpp v209, v13, v209 row_newbcast:5 row_mask:0xf bank_mask:0xf// 00000000C748: 0BA3A2FA FF01550D
	v_mul_f32_dpp v210, v13, v210 row_newbcast:6 row_mask:0xf bank_mask:0xf// 00000000C750: 0BA5A4FA FF01560D
	v_mul_f32_dpp v211, v13, v211 row_newbcast:7 row_mask:0xf bank_mask:0xf// 00000000C758: 0BA7A6FA FF01570D
	v_pk_mul_f32 v[208:209], v[44:45], v[208:209]              // 00000000C760: D3B140D0 1803A12C
	v_pk_mul_f32 v[210:211], v[44:45], v[210:211]              // 00000000C768: D3B140D2 1803A52C
	v_cvt_f32_i32_e32 v216, v216                               // 00000000C770: 7FB00BD8
	v_cvt_f32_i32_e32 v217, v217                               // 00000000C774: 7FB20BD9
	v_cvt_f32_i32_e32 v218, v218                               // 00000000C778: 7FB40BDA
	v_cvt_f32_i32_e32 v219, v219                               // 00000000C77C: 7FB60BDB
	v_pk_mul_f32 v[216:217], v[42:43], v[216:217]              // 00000000C780: D3B140D8 1803B12A
	v_pk_mul_f32 v[218:219], v[42:43], v[218:219]              // 00000000C788: D3B140DA 1803B52A
	v_mul_f32_dpp v216, v13, v216 row_newbcast:8 row_mask:0xf bank_mask:0xf// 00000000C790: 0BB1B0FA FF01580D
	v_mul_f32_dpp v217, v13, v217 row_newbcast:9 row_mask:0xf bank_mask:0xf// 00000000C798: 0BB3B2FA FF01590D
	v_mul_f32_dpp v218, v13, v218 row_newbcast:10 row_mask:0xf bank_mask:0xf// 00000000C7A0: 0BB5B4FA FF015A0D
	v_mul_f32_dpp v219, v13, v219 row_newbcast:11 row_mask:0xf bank_mask:0xf// 00000000C7A8: 0BB7B6FA FF015B0D
	v_pk_mul_f32 v[216:217], v[44:45], v[216:217]              // 00000000C7B0: D3B140D8 1803B12C
	v_pk_mul_f32 v[218:219], v[44:45], v[218:219]              // 00000000C7B8: D3B140DA 1803B52C
	v_cvt_f32_i32_e32 v224, v224                               // 00000000C7C0: 7FC00BE0
	v_cvt_f32_i32_e32 v225, v225                               // 00000000C7C4: 7FC20BE1
	v_cvt_f32_i32_e32 v226, v226                               // 00000000C7C8: 7FC40BE2
	v_cvt_f32_i32_e32 v227, v227                               // 00000000C7CC: 7FC60BE3
	v_pk_mul_f32 v[224:225], v[42:43], v[224:225]              // 00000000C7D0: D3B140E0 1803C12A
	v_pk_mul_f32 v[226:227], v[42:43], v[226:227]              // 00000000C7D8: D3B140E2 1803C52A
	v_mul_f32_dpp v224, v13, v224 row_newbcast:12 row_mask:0xf bank_mask:0xf// 00000000C7E0: 0BC1C0FA FF015C0D
	v_mul_f32_dpp v225, v13, v225 row_newbcast:13 row_mask:0xf bank_mask:0xf// 00000000C7E8: 0BC3C2FA FF015D0D
	v_mul_f32_dpp v226, v13, v226 row_newbcast:14 row_mask:0xf bank_mask:0xf// 00000000C7F0: 0BC5C4FA FF015E0D
	v_mul_f32_dpp v227, v13, v227 row_newbcast:15 row_mask:0xf bank_mask:0xf// 00000000C7F8: 0BC7C6FA FF015F0D
	v_pk_mul_f32 v[224:225], v[44:45], v[224:225]              // 00000000C800: D3B140E0 1803C12C
	v_pk_mul_f32 v[226:227], v[44:45], v[226:227]              // 00000000C808: D3B140E2 1803C52C
	v_mov_b32_e32 v42, v25                                     // 00000000C810: 7E540319
	v_mov_b32_e32 v44, v21                                     // 00000000C814: 7E580315
	v_mov_b32_e32 v43, v42                                     // 00000000C818: 7E56032A
	v_mov_b32_e32 v45, v44                                     // 00000000C81C: 7E5A032C
	v_cvt_f32_i32_e32 v204, v204                               // 00000000C820: 7F980BCC
	v_cvt_f32_i32_e32 v205, v205                               // 00000000C824: 7F9A0BCD
	v_cvt_f32_i32_e32 v206, v206                               // 00000000C828: 7F9C0BCE
	v_cvt_f32_i32_e32 v207, v207                               // 00000000C82C: 7F9E0BCF
	v_pk_mul_f32 v[204:205], v[42:43], v[204:205]              // 00000000C830: D3B140CC 1803992A
	v_pk_mul_f32 v[206:207], v[42:43], v[206:207]              // 00000000C838: D3B140CE 18039D2A
	v_mul_f32_dpp v204, v13, v204 row_newbcast:0 row_mask:0xf bank_mask:0xf// 00000000C840: 0B9998FA FF01500D
	v_mul_f32_dpp v205, v13, v205 row_newbcast:1 row_mask:0xf bank_mask:0xf// 00000000C848: 0B9B9AFA FF01510D
	v_mul_f32_dpp v206, v13, v206 row_newbcast:2 row_mask:0xf bank_mask:0xf// 00000000C850: 0B9D9CFA FF01520D
	v_mul_f32_dpp v207, v13, v207 row_newbcast:3 row_mask:0xf bank_mask:0xf// 00000000C858: 0B9F9EFA FF01530D
	v_pk_mul_f32 v[204:205], v[44:45], v[204:205]              // 00000000C860: D3B140CC 1803992C
	v_pk_mul_f32 v[206:207], v[44:45], v[206:207]              // 00000000C868: D3B140CE 18039D2C
	v_cvt_f32_i32_e32 v212, v212                               // 00000000C870: 7FA80BD4
	v_cvt_f32_i32_e32 v213, v213                               // 00000000C874: 7FAA0BD5
	v_cvt_f32_i32_e32 v214, v214                               // 00000000C878: 7FAC0BD6
	v_cvt_f32_i32_e32 v215, v215                               // 00000000C87C: 7FAE0BD7
	v_pk_mul_f32 v[212:213], v[42:43], v[212:213]              // 00000000C880: D3B140D4 1803A92A
	v_pk_mul_f32 v[214:215], v[42:43], v[214:215]              // 00000000C888: D3B140D6 1803AD2A
	v_mul_f32_dpp v212, v13, v212 row_newbcast:4 row_mask:0xf bank_mask:0xf// 00000000C890: 0BA9A8FA FF01540D
	v_mul_f32_dpp v213, v13, v213 row_newbcast:5 row_mask:0xf bank_mask:0xf// 00000000C898: 0BABAAFA FF01550D
	v_mul_f32_dpp v214, v13, v214 row_newbcast:6 row_mask:0xf bank_mask:0xf// 00000000C8A0: 0BADACFA FF01560D
	v_mul_f32_dpp v215, v13, v215 row_newbcast:7 row_mask:0xf bank_mask:0xf// 00000000C8A8: 0BAFAEFA FF01570D
	v_pk_mul_f32 v[212:213], v[44:45], v[212:213]              // 00000000C8B0: D3B140D4 1803A92C
	v_pk_mul_f32 v[214:215], v[44:45], v[214:215]              // 00000000C8B8: D3B140D6 1803AD2C
	v_cvt_f32_i32_e32 v220, v220                               // 00000000C8C0: 7FB80BDC
	v_cvt_f32_i32_e32 v221, v221                               // 00000000C8C4: 7FBA0BDD
	v_cvt_f32_i32_e32 v222, v222                               // 00000000C8C8: 7FBC0BDE
	v_cvt_f32_i32_e32 v223, v223                               // 00000000C8CC: 7FBE0BDF
	v_pk_mul_f32 v[220:221], v[42:43], v[220:221]              // 00000000C8D0: D3B140DC 1803B92A
	v_pk_mul_f32 v[222:223], v[42:43], v[222:223]              // 00000000C8D8: D3B140DE 1803BD2A
	v_mul_f32_dpp v220, v13, v220 row_newbcast:8 row_mask:0xf bank_mask:0xf// 00000000C8E0: 0BB9B8FA FF01580D
	v_mul_f32_dpp v221, v13, v221 row_newbcast:9 row_mask:0xf bank_mask:0xf// 00000000C8E8: 0BBBBAFA FF01590D
	v_mul_f32_dpp v222, v13, v222 row_newbcast:10 row_mask:0xf bank_mask:0xf// 00000000C8F0: 0BBDBCFA FF015A0D
	v_mul_f32_dpp v223, v13, v223 row_newbcast:11 row_mask:0xf bank_mask:0xf// 00000000C8F8: 0BBFBEFA FF015B0D
	v_pk_mul_f32 v[220:221], v[44:45], v[220:221]              // 00000000C900: D3B140DC 1803B92C
	v_pk_mul_f32 v[222:223], v[44:45], v[222:223]              // 00000000C908: D3B140DE 1803BD2C
	v_cvt_f32_i32_e32 v228, v228                               // 00000000C910: 7FC80BE4
	v_cvt_f32_i32_e32 v229, v229                               // 00000000C914: 7FCA0BE5
	v_cvt_f32_i32_e32 v230, v230                               // 00000000C918: 7FCC0BE6
	v_cvt_f32_i32_e32 v231, v231                               // 00000000C91C: 7FCE0BE7
	v_pk_mul_f32 v[228:229], v[42:43], v[228:229]              // 00000000C920: D3B140E4 1803C92A
	v_pk_mul_f32 v[230:231], v[42:43], v[230:231]              // 00000000C928: D3B140E6 1803CD2A
	v_mul_f32_dpp v228, v13, v228 row_newbcast:12 row_mask:0xf bank_mask:0xf// 00000000C930: 0BC9C8FA FF015C0D
	v_mul_f32_dpp v229, v13, v229 row_newbcast:13 row_mask:0xf bank_mask:0xf// 00000000C938: 0BCBCAFA FF015D0D
	v_mul_f32_dpp v230, v13, v230 row_newbcast:14 row_mask:0xf bank_mask:0xf// 00000000C940: 0BCDCCFA FF015E0D
	v_mul_f32_dpp v231, v13, v231 row_newbcast:15 row_mask:0xf bank_mask:0xf// 00000000C948: 0BCFCEFA FF015F0D
	v_pk_mul_f32 v[228:229], v[44:45], v[228:229]              // 00000000C950: D3B140E4 1803C92C
	v_pk_mul_f32 v[230:231], v[44:45], v[230:231]              // 00000000C958: D3B140E6 1803CD2C
	v_cmp_u_f32_e64 s[48:49], v200, v200                       // 00000000C960: D0480030 000391C8
	v_add3_u32 v50, v200, v53, 1                               // 00000000C968: D1FF0032 02066BC8
	v_cndmask_b32_e64 v42, v50, v52, s[48:49]                  // 00000000C970: D100002A 00C26932
	v_cmp_u_f32_e64 s[48:49], v201, v201                       // 00000000C978: D0480030 000393C9
	v_add3_u32 v50, v201, v53, 1                               // 00000000C980: D1FF0032 02066BC9
	v_cndmask_b32_e64 v43, v50, v52, s[48:49]                  // 00000000C988: D100002B 00C26932
	v_perm_b32 v200, v43, v42, s52                             // 00000000C990: D1ED00C8 00D2552B
	v_cmp_u_f32_e64 s[48:49], v202, v202                       // 00000000C998: D0480030 000395CA
	v_add3_u32 v50, v202, v53, 1                               // 00000000C9A0: D1FF0032 02066BCA
	v_cndmask_b32_e64 v42, v50, v52, s[48:49]                  // 00000000C9A8: D100002A 00C26932
	v_cmp_u_f32_e64 s[48:49], v203, v203                       // 00000000C9B0: D0480030 000397CB
	v_add3_u32 v50, v203, v53, 1                               // 00000000C9B8: D1FF0032 02066BCB
	v_cndmask_b32_e64 v43, v50, v52, s[48:49]                  // 00000000C9C0: D100002B 00C26932
	v_perm_b32 v201, v43, v42, s52                             // 00000000C9C8: D1ED00C9 00D2552B
	v_cmp_u_f32_e64 s[48:49], v204, v204                       // 00000000C9D0: D0480030 000399CC
	v_add3_u32 v50, v204, v53, 1                               // 00000000C9D8: D1FF0032 02066BCC
	v_cndmask_b32_e64 v42, v50, v52, s[48:49]                  // 00000000C9E0: D100002A 00C26932
	v_cmp_u_f32_e64 s[48:49], v205, v205                       // 00000000C9E8: D0480030 00039BCD
	v_add3_u32 v50, v205, v53, 1                               // 00000000C9F0: D1FF0032 02066BCD
	v_cndmask_b32_e64 v43, v50, v52, s[48:49]                  // 00000000C9F8: D100002B 00C26932
	v_perm_b32 v202, v43, v42, s52                             // 00000000CA00: D1ED00CA 00D2552B
	v_cmp_u_f32_e64 s[48:49], v206, v206                       // 00000000CA08: D0480030 00039DCE
	v_add3_u32 v50, v206, v53, 1                               // 00000000CA10: D1FF0032 02066BCE
	v_cndmask_b32_e64 v42, v50, v52, s[48:49]                  // 00000000CA18: D100002A 00C26932
	v_cmp_u_f32_e64 s[48:49], v207, v207                       // 00000000CA20: D0480030 00039FCF
	v_add3_u32 v50, v207, v53, 1                               // 00000000CA28: D1FF0032 02066BCF
	v_cndmask_b32_e64 v43, v50, v52, s[48:49]                  // 00000000CA30: D100002B 00C26932
	v_perm_b32 v203, v43, v42, s52                             // 00000000CA38: D1ED00CB 00D2552B
	v_cmp_u_f32_e64 s[48:49], v208, v208                       // 00000000CA40: D0480030 0003A1D0
	v_add3_u32 v50, v208, v53, 1                               // 00000000CA48: D1FF0032 02066BD0
	v_cndmask_b32_e64 v42, v50, v52, s[48:49]                  // 00000000CA50: D100002A 00C26932
	v_cmp_u_f32_e64 s[48:49], v209, v209                       // 00000000CA58: D0480030 0003A3D1
	v_add3_u32 v50, v209, v53, 1                               // 00000000CA60: D1FF0032 02066BD1
	v_cndmask_b32_e64 v43, v50, v52, s[48:49]                  // 00000000CA68: D100002B 00C26932
	v_perm_b32 v204, v43, v42, s52                             // 00000000CA70: D1ED00CC 00D2552B
	v_cmp_u_f32_e64 s[48:49], v210, v210                       // 00000000CA78: D0480030 0003A5D2
	v_add3_u32 v50, v210, v53, 1                               // 00000000CA80: D1FF0032 02066BD2
	v_cndmask_b32_e64 v42, v50, v52, s[48:49]                  // 00000000CA88: D100002A 00C26932
	v_cmp_u_f32_e64 s[48:49], v211, v211                       // 00000000CA90: D0480030 0003A7D3
	v_add3_u32 v50, v211, v53, 1                               // 00000000CA98: D1FF0032 02066BD3
	v_cndmask_b32_e64 v43, v50, v52, s[48:49]                  // 00000000CAA0: D100002B 00C26932
	v_perm_b32 v205, v43, v42, s52                             // 00000000CAA8: D1ED00CD 00D2552B
	v_cmp_u_f32_e64 s[48:49], v212, v212                       // 00000000CAB0: D0480030 0003A9D4
	v_add3_u32 v50, v212, v53, 1                               // 00000000CAB8: D1FF0032 02066BD4
	v_cndmask_b32_e64 v42, v50, v52, s[48:49]                  // 00000000CAC0: D100002A 00C26932
	v_cmp_u_f32_e64 s[48:49], v213, v213                       // 00000000CAC8: D0480030 0003ABD5
	v_add3_u32 v50, v213, v53, 1                               // 00000000CAD0: D1FF0032 02066BD5
	v_cndmask_b32_e64 v43, v50, v52, s[48:49]                  // 00000000CAD8: D100002B 00C26932
	v_perm_b32 v206, v43, v42, s52                             // 00000000CAE0: D1ED00CE 00D2552B
	v_cmp_u_f32_e64 s[48:49], v214, v214                       // 00000000CAE8: D0480030 0003ADD6
	v_add3_u32 v50, v214, v53, 1                               // 00000000CAF0: D1FF0032 02066BD6
	v_cndmask_b32_e64 v42, v50, v52, s[48:49]                  // 00000000CAF8: D100002A 00C26932
	v_cmp_u_f32_e64 s[48:49], v215, v215                       // 00000000CB00: D0480030 0003AFD7
	v_add3_u32 v50, v215, v53, 1                               // 00000000CB08: D1FF0032 02066BD7
	v_cndmask_b32_e64 v43, v50, v52, s[48:49]                  // 00000000CB10: D100002B 00C26932
	v_perm_b32 v207, v43, v42, s52                             // 00000000CB18: D1ED00CF 00D2552B
	v_cmp_u_f32_e64 s[48:49], v216, v216                       // 00000000CB20: D0480030 0003B1D8
	v_add3_u32 v50, v216, v53, 1                               // 00000000CB28: D1FF0032 02066BD8
	v_cndmask_b32_e64 v42, v50, v52, s[48:49]                  // 00000000CB30: D100002A 00C26932
	v_cmp_u_f32_e64 s[48:49], v217, v217                       // 00000000CB38: D0480030 0003B3D9
	v_add3_u32 v50, v217, v53, 1                               // 00000000CB40: D1FF0032 02066BD9
	v_cndmask_b32_e64 v43, v50, v52, s[48:49]                  // 00000000CB48: D100002B 00C26932
	v_perm_b32 v208, v43, v42, s52                             // 00000000CB50: D1ED00D0 00D2552B
	v_cmp_u_f32_e64 s[48:49], v218, v218                       // 00000000CB58: D0480030 0003B5DA
	v_add3_u32 v50, v218, v53, 1                               // 00000000CB60: D1FF0032 02066BDA
	v_cndmask_b32_e64 v42, v50, v52, s[48:49]                  // 00000000CB68: D100002A 00C26932
	v_cmp_u_f32_e64 s[48:49], v219, v219                       // 00000000CB70: D0480030 0003B7DB
	v_add3_u32 v50, v219, v53, 1                               // 00000000CB78: D1FF0032 02066BDB
	v_cndmask_b32_e64 v43, v50, v52, s[48:49]                  // 00000000CB80: D100002B 00C26932
	v_perm_b32 v209, v43, v42, s52                             // 00000000CB88: D1ED00D1 00D2552B
	v_cmp_u_f32_e64 s[48:49], v220, v220                       // 00000000CB90: D0480030 0003B9DC
	v_add3_u32 v50, v220, v53, 1                               // 00000000CB98: D1FF0032 02066BDC
	v_cndmask_b32_e64 v42, v50, v52, s[48:49]                  // 00000000CBA0: D100002A 00C26932
	v_cmp_u_f32_e64 s[48:49], v221, v221                       // 00000000CBA8: D0480030 0003BBDD
	v_add3_u32 v50, v221, v53, 1                               // 00000000CBB0: D1FF0032 02066BDD
	v_cndmask_b32_e64 v43, v50, v52, s[48:49]                  // 00000000CBB8: D100002B 00C26932
	v_perm_b32 v210, v43, v42, s52                             // 00000000CBC0: D1ED00D2 00D2552B
	v_cmp_u_f32_e64 s[48:49], v222, v222                       // 00000000CBC8: D0480030 0003BDDE
	v_add3_u32 v50, v222, v53, 1                               // 00000000CBD0: D1FF0032 02066BDE
	v_cndmask_b32_e64 v42, v50, v52, s[48:49]                  // 00000000CBD8: D100002A 00C26932
	v_cmp_u_f32_e64 s[48:49], v223, v223                       // 00000000CBE0: D0480030 0003BFDF
	v_add3_u32 v50, v223, v53, 1                               // 00000000CBE8: D1FF0032 02066BDF
	v_cndmask_b32_e64 v43, v50, v52, s[48:49]                  // 00000000CBF0: D100002B 00C26932
	v_perm_b32 v211, v43, v42, s52                             // 00000000CBF8: D1ED00D3 00D2552B
	v_cmp_u_f32_e64 s[48:49], v224, v224                       // 00000000CC00: D0480030 0003C1E0
	v_add3_u32 v50, v224, v53, 1                               // 00000000CC08: D1FF0032 02066BE0
	v_cndmask_b32_e64 v42, v50, v52, s[48:49]                  // 00000000CC10: D100002A 00C26932
	v_cmp_u_f32_e64 s[48:49], v225, v225                       // 00000000CC18: D0480030 0003C3E1
	v_add3_u32 v50, v225, v53, 1                               // 00000000CC20: D1FF0032 02066BE1
	v_cndmask_b32_e64 v43, v50, v52, s[48:49]                  // 00000000CC28: D100002B 00C26932
	v_perm_b32 v212, v43, v42, s52                             // 00000000CC30: D1ED00D4 00D2552B
	v_cmp_u_f32_e64 s[48:49], v226, v226                       // 00000000CC38: D0480030 0003C5E2
	v_add3_u32 v50, v226, v53, 1                               // 00000000CC40: D1FF0032 02066BE2
	v_cndmask_b32_e64 v42, v50, v52, s[48:49]                  // 00000000CC48: D100002A 00C26932
	v_cmp_u_f32_e64 s[48:49], v227, v227                       // 00000000CC50: D0480030 0003C7E3
	v_add3_u32 v50, v227, v53, 1                               // 00000000CC58: D1FF0032 02066BE3
	v_cndmask_b32_e64 v43, v50, v52, s[48:49]                  // 00000000CC60: D100002B 00C26932
	v_perm_b32 v213, v43, v42, s52                             // 00000000CC68: D1ED00D5 00D2552B
	v_cmp_u_f32_e64 s[48:49], v228, v228                       // 00000000CC70: D0480030 0003C9E4
	v_add3_u32 v50, v228, v53, 1                               // 00000000CC78: D1FF0032 02066BE4
	v_cndmask_b32_e64 v42, v50, v52, s[48:49]                  // 00000000CC80: D100002A 00C26932
	v_cmp_u_f32_e64 s[48:49], v229, v229                       // 00000000CC88: D0480030 0003CBE5
	v_add3_u32 v50, v229, v53, 1                               // 00000000CC90: D1FF0032 02066BE5
	v_cndmask_b32_e64 v43, v50, v52, s[48:49]                  // 00000000CC98: D100002B 00C26932
	v_perm_b32 v214, v43, v42, s52                             // 00000000CCA0: D1ED00D6 00D2552B
	v_cmp_u_f32_e64 s[48:49], v230, v230                       // 00000000CCA8: D0480030 0003CDE6
	v_add3_u32 v50, v230, v53, 1                               // 00000000CCB0: D1FF0032 02066BE6
	v_cndmask_b32_e64 v42, v50, v52, s[48:49]                  // 00000000CCB8: D100002A 00C26932
	v_cmp_u_f32_e64 s[48:49], v231, v231                       // 00000000CCC0: D0480030 0003CFE7
	v_add3_u32 v50, v231, v53, 1                               // 00000000CCC8: D1FF0032 02066BE7
	v_cndmask_b32_e64 v43, v50, v52, s[48:49]                  // 00000000CCD0: D100002B 00C26932
	v_perm_b32 v215, v43, v42, s52                             // 00000000CCD8: D1ED00D7 00D2552B
	s_cmp_ge_u32 s80, 0x200                                    // 00000000CCE0: BF09FF50 00000200
	s_cselect_b32 s59, 0x200, s59                              // 00000000CCE8: 853B3BFF 00000200
	s_setvskip s20, 0                                          // 00000000CCF0: BF108014
	global_atomic_pk_add_bf16 v80, v64, s[8:9]                 // 00000000CCF4: DD488000 00084050
	s_setvskip 0, 0                                            // 00000000CCFC: BF108080
	s_setvskip s20, 0                                          // 00000000CD00: BF108014
	global_atomic_pk_add_bf16 v80, v65, s[8:9] offset:256      // 00000000CD04: DD488100 00084150
	s_setvskip 0, 0                                            // 00000000CD0C: BF108080
	s_setvskip s20, 1                                          // 00000000CD10: BF108114
	global_atomic_pk_add_bf16 v82, v66, s[8:9]                 // 00000000CD14: DD488000 00084252
	s_setvskip 0, 0                                            // 00000000CD1C: BF108080
	s_setvskip s20, 1                                          // 00000000CD20: BF108114
	global_atomic_pk_add_bf16 v82, v67, s[8:9] offset:256      // 00000000CD24: DD488100 00084352
	s_setvskip 0, 0                                            // 00000000CD2C: BF108080
	s_setvskip s20, 2                                          // 00000000CD30: BF108214
	global_atomic_pk_add_bf16 v84, v68, s[8:9]                 // 00000000CD34: DD488000 00084454
	s_setvskip 0, 0                                            // 00000000CD3C: BF108080
	s_setvskip s20, 2                                          // 00000000CD40: BF108214
	global_atomic_pk_add_bf16 v84, v69, s[8:9] offset:256      // 00000000CD44: DD488100 00084554
	s_setvskip 0, 0                                            // 00000000CD4C: BF108080
	s_setvskip s20, 3                                          // 00000000CD50: BF108314
	global_atomic_pk_add_bf16 v86, v70, s[8:9]                 // 00000000CD54: DD488000 00084656
	s_setvskip 0, 0                                            // 00000000CD5C: BF108080
	s_setvskip s20, 3                                          // 00000000CD60: BF108314
	global_atomic_pk_add_bf16 v86, v71, s[8:9] offset:256      // 00000000CD64: DD488100 00084756
	s_setvskip 0, 0                                            // 00000000CD6C: BF108080
	s_setvskip s20, 4                                          // 00000000CD70: BF108414
	global_atomic_pk_add_bf16 v88, v72, s[8:9]                 // 00000000CD74: DD488000 00084858
	s_setvskip 0, 0                                            // 00000000CD7C: BF108080
	s_setvskip s20, 4                                          // 00000000CD80: BF108414
	global_atomic_pk_add_bf16 v88, v73, s[8:9] offset:256      // 00000000CD84: DD488100 00084958
	s_setvskip 0, 0                                            // 00000000CD8C: BF108080
	s_setvskip s20, 5                                          // 00000000CD90: BF108514
	global_atomic_pk_add_bf16 v90, v74, s[8:9]                 // 00000000CD94: DD488000 00084A5A
	s_setvskip 0, 0                                            // 00000000CD9C: BF108080
	s_setvskip s20, 5                                          // 00000000CDA0: BF108514
	global_atomic_pk_add_bf16 v90, v75, s[8:9] offset:256      // 00000000CDA4: DD488100 00084B5A
	s_setvskip 0, 0                                            // 00000000CDAC: BF108080
	s_setvskip s20, 6                                          // 00000000CDB0: BF108614
	global_atomic_pk_add_bf16 v92, v76, s[8:9]                 // 00000000CDB4: DD488000 00084C5C
	s_setvskip 0, 0                                            // 00000000CDBC: BF108080
	s_setvskip s20, 6                                          // 00000000CDC0: BF108614
	global_atomic_pk_add_bf16 v92, v77, s[8:9] offset:256      // 00000000CDC4: DD488100 00084D5C
	s_setvskip 0, 0                                            // 00000000CDCC: BF108080
	s_setvskip s20, 7                                          // 00000000CDD0: BF108714
	global_atomic_pk_add_bf16 v94, v78, s[8:9]                 // 00000000CDD4: DD488000 00084E5E
	s_setvskip 0, 0                                            // 00000000CDDC: BF108080
	s_setvskip s20, 7                                          // 00000000CDE0: BF108714
	global_atomic_pk_add_bf16 v94, v79, s[8:9] offset:256      // 00000000CDE4: DD488100 00084F5E
	s_setvskip 0, 0                                            // 00000000CDEC: BF108080
	s_add_u32 s8, s59, s8                                      // 00000000CDF0: 8008083B
	s_addc_u32 s9, 0, s9                                       // 00000000CDF4: 82090980
	s_addk_i32 s80, 0x100                                      // 00000000CDF8: B7500100
	s_cmp_lt_i32 s80, s81                                      // 00000000CDFC: BF045150
	s_cbranch_scc0 label_165C                                  // 00000000CE00: BF84ED9B
	s_branch label_22FB                                        // 00000000CE04: BF82FA39

000000000000ce08 <label_28C2>:
	s_cmp_ge_u32 s59, 0                                        // 00000000CE08: BF09803B
	s_cselect_b32 s59, 0x200, s59                              // 00000000CE0C: 853B3BFF 00000200
	s_waitcnt lgkmcnt(0)                                       // 00000000CE14: BF8CC07F
	s_barrier                                                  // 00000000CE18: BF8A0000
	s_cmp_eq_u32 s64, 0x100                                    // 00000000CE1C: BF06FF40 00000100
	s_cbranch_scc0 label_293E                                  // 00000000CE24: BF840074
	ds_write_b64 v3, v[168:169] offset:2048                    // 00000000CE28: D89A0800 0000A803
	ds_write_b64 v3, v[170:171] offset:10752                   // 00000000CE30: D89A2A00 0000AA03
	ds_write_b64 v3, v[172:173] offset:4224                    // 00000000CE38: D89A1080 0000AC03
	ds_write_b64 v3, v[174:175] offset:12928                   // 00000000CE40: D89A3280 0000AE03
	ds_write_b64 v3, v[176:177] offset:6400                    // 00000000CE48: D89A1900 0000B003
	ds_write_b64 v3, v[178:179] offset:15104                   // 00000000CE50: D89A3B00 0000B203
	ds_write_b64 v3, v[180:181] offset:8576                    // 00000000CE58: D89A2180 0000B403
	ds_write_b64 v3, v[182:183] offset:17280                   // 00000000CE60: D89A4380 0000B603
	s_waitcnt lgkmcnt(0)                                       // 00000000CE68: BF8CC07F
	s_barrier                                                  // 00000000CE6C: BF8A0000
	ds_read_b32 v64, v4 offset:2048                            // 00000000CE70: D86C0800 40000004
	ds_read_b32 v65, v4 offset:6400                            // 00000000CE78: D86C1900 41000004
	ds_read_b32 v66, v4 offset:2080                            // 00000000CE80: D86C0820 42000004
	ds_read_b32 v67, v4 offset:6432                            // 00000000CE88: D86C1920 43000004
	ds_read_b32 v68, v4 offset:2112                            // 00000000CE90: D86C0840 44000004
	ds_read_b32 v69, v4 offset:6464                            // 00000000CE98: D86C1940 45000004
	ds_read_b32 v70, v4 offset:2144                            // 00000000CEA0: D86C0860 46000004
	ds_read_b32 v71, v4 offset:6496                            // 00000000CEA8: D86C1960 47000004
	ds_read_b32 v72, v4 offset:10752                           // 00000000CEB0: D86C2A00 48000004
	ds_read_b32 v73, v4 offset:15104                           // 00000000CEB8: D86C3B00 49000004
	ds_read_b32 v74, v4 offset:10784                           // 00000000CEC0: D86C2A20 4A000004
	ds_read_b32 v75, v4 offset:15136                           // 00000000CEC8: D86C3B20 4B000004
	ds_read_b32 v76, v4 offset:10816                           // 00000000CED0: D86C2A40 4C000004
	ds_read_b32 v77, v4 offset:15168                           // 00000000CED8: D86C3B40 4D000004
	ds_read_b32 v78, v4 offset:10848                           // 00000000CEE0: D86C2A60 4E000004
	ds_read_b32 v79, v4 offset:15200                           // 00000000CEE8: D86C3B60 4F000004
	s_waitcnt lgkmcnt(0)                                       // 00000000CEF0: BF8CC07F
	s_setvskip s20, 0                                          // 00000000CEF4: BF108014
	global_atomic_pk_add_bf16 v80, v64, s[8:9]                 // 00000000CEF8: DD488000 00084050
	s_setvskip 0, 0                                            // 00000000CF00: BF108080
	s_setvskip s20, 0                                          // 00000000CF04: BF108014
	global_atomic_pk_add_bf16 v80, v65, s[8:9] offset:256      // 00000000CF08: DD488100 00084150
	s_setvskip 0, 0                                            // 00000000CF10: BF108080
	s_setvskip s20, 1                                          // 00000000CF14: BF108114
	global_atomic_pk_add_bf16 v82, v66, s[8:9]                 // 00000000CF18: DD488000 00084252
	s_setvskip 0, 0                                            // 00000000CF20: BF108080
	s_setvskip s20, 1                                          // 00000000CF24: BF108114
	global_atomic_pk_add_bf16 v82, v67, s[8:9] offset:256      // 00000000CF28: DD488100 00084352
	s_setvskip 0, 0                                            // 00000000CF30: BF108080
	s_setvskip s20, 2                                          // 00000000CF34: BF108214
	global_atomic_pk_add_bf16 v84, v68, s[8:9]                 // 00000000CF38: DD488000 00084454
	s_setvskip 0, 0                                            // 00000000CF40: BF108080
	s_setvskip s20, 2                                          // 00000000CF44: BF108214
	global_atomic_pk_add_bf16 v84, v69, s[8:9] offset:256      // 00000000CF48: DD488100 00084554
	s_setvskip 0, 0                                            // 00000000CF50: BF108080
	s_setvskip s20, 3                                          // 00000000CF54: BF108314
	global_atomic_pk_add_bf16 v86, v70, s[8:9]                 // 00000000CF58: DD488000 00084656
	s_setvskip 0, 0                                            // 00000000CF60: BF108080
	s_setvskip s20, 3                                          // 00000000CF64: BF108314
	global_atomic_pk_add_bf16 v86, v71, s[8:9] offset:256      // 00000000CF68: DD488100 00084756
	s_setvskip 0, 0                                            // 00000000CF70: BF108080
	s_setvskip s20, 4                                          // 00000000CF74: BF108414
	global_atomic_pk_add_bf16 v88, v72, s[8:9]                 // 00000000CF78: DD488000 00084858
	s_setvskip 0, 0                                            // 00000000CF80: BF108080
	s_setvskip s20, 4                                          // 00000000CF84: BF108414
	global_atomic_pk_add_bf16 v88, v73, s[8:9] offset:256      // 00000000CF88: DD488100 00084958
	s_setvskip 0, 0                                            // 00000000CF90: BF108080
	s_setvskip s20, 5                                          // 00000000CF94: BF108514
	global_atomic_pk_add_bf16 v90, v74, s[8:9]                 // 00000000CF98: DD488000 00084A5A
	s_setvskip 0, 0                                            // 00000000CFA0: BF108080
	s_setvskip s20, 5                                          // 00000000CFA4: BF108514
	global_atomic_pk_add_bf16 v90, v75, s[8:9] offset:256      // 00000000CFA8: DD488100 00084B5A
	s_setvskip 0, 0                                            // 00000000CFB0: BF108080
	s_setvskip s20, 6                                          // 00000000CFB4: BF108614
	global_atomic_pk_add_bf16 v92, v76, s[8:9]                 // 00000000CFB8: DD488000 00084C5C
	s_setvskip 0, 0                                            // 00000000CFC0: BF108080
	s_setvskip s20, 6                                          // 00000000CFC4: BF108614
	global_atomic_pk_add_bf16 v92, v77, s[8:9] offset:256      // 00000000CFC8: DD488100 00084D5C
	s_setvskip 0, 0                                            // 00000000CFD0: BF108080
	s_setvskip s20, 7                                          // 00000000CFD4: BF108714
	global_atomic_pk_add_bf16 v94, v78, s[8:9]                 // 00000000CFD8: DD488000 00084E5E
	s_setvskip 0, 0                                            // 00000000CFE0: BF108080
	s_setvskip s20, 7                                          // 00000000CFE4: BF108714
	global_atomic_pk_add_bf16 v94, v79, s[8:9] offset:256      // 00000000CFE8: DD488100 00084F5E
	s_setvskip 0, 0                                            // 00000000CFF0: BF108080
	s_branch label_2A14                                        // 00000000CFF4: BF8200D6

000000000000cff8 <label_293E>:
	ds_read_b32 v64, v4 offset:2048                            // 00000000CFF8: D86C0800 40000004
	ds_read_b32 v65, v4 offset:6400                            // 00000000D000: D86C1900 41000004
	ds_read_b32 v66, v4 offset:2080                            // 00000000D008: D86C0820 42000004
	ds_read_b32 v67, v4 offset:6432                            // 00000000D010: D86C1920 43000004
	ds_read_b32 v68, v4 offset:2112                            // 00000000D018: D86C0840 44000004
	ds_read_b32 v69, v4 offset:6464                            // 00000000D020: D86C1940 45000004
	ds_read_b32 v70, v4 offset:2144                            // 00000000D028: D86C0860 46000004
	ds_read_b32 v71, v4 offset:6496                            // 00000000D030: D86C1960 47000004
	ds_read_b32 v72, v4 offset:10752                           // 00000000D038: D86C2A00 48000004
	ds_read_b32 v73, v4 offset:15104                           // 00000000D040: D86C3B00 49000004
	ds_read_b32 v74, v4 offset:10784                           // 00000000D048: D86C2A20 4A000004
	ds_read_b32 v75, v4 offset:15136                           // 00000000D050: D86C3B20 4B000004
	ds_read_b32 v76, v4 offset:10816                           // 00000000D058: D86C2A40 4C000004
	ds_read_b32 v77, v4 offset:15168                           // 00000000D060: D86C3B40 4D000004
	ds_read_b32 v78, v4 offset:10848                           // 00000000D068: D86C2A60 4E000004
	ds_read_b32 v79, v4 offset:15200                           // 00000000D070: D86C3B60 4F000004
	s_waitcnt lgkmcnt(0)                                       // 00000000D078: BF8CC07F
	s_setvskip s20, 0                                          // 00000000D07C: BF108014
	global_atomic_pk_add_bf16 v80, v64, s[8:9]                 // 00000000D080: DD488000 00084050
	s_setvskip 0, 0                                            // 00000000D088: BF108080
	s_setvskip s20, 0                                          // 00000000D08C: BF108014
	global_atomic_pk_add_bf16 v80, v65, s[8:9] offset:256      // 00000000D090: DD488100 00084150
	s_setvskip 0, 0                                            // 00000000D098: BF108080
	s_setvskip s20, 1                                          // 00000000D09C: BF108114
	global_atomic_pk_add_bf16 v82, v66, s[8:9]                 // 00000000D0A0: DD488000 00084252
	s_setvskip 0, 0                                            // 00000000D0A8: BF108080
	s_setvskip s20, 1                                          // 00000000D0AC: BF108114
	global_atomic_pk_add_bf16 v82, v67, s[8:9] offset:256      // 00000000D0B0: DD488100 00084352
	s_setvskip 0, 0                                            // 00000000D0B8: BF108080
	s_setvskip s20, 2                                          // 00000000D0BC: BF108214
	global_atomic_pk_add_bf16 v84, v68, s[8:9]                 // 00000000D0C0: DD488000 00084454
	s_setvskip 0, 0                                            // 00000000D0C8: BF108080
	s_setvskip s20, 2                                          // 00000000D0CC: BF108214
	global_atomic_pk_add_bf16 v84, v69, s[8:9] offset:256      // 00000000D0D0: DD488100 00084554
	s_setvskip 0, 0                                            // 00000000D0D8: BF108080
	s_setvskip s20, 3                                          // 00000000D0DC: BF108314
	global_atomic_pk_add_bf16 v86, v70, s[8:9]                 // 00000000D0E0: DD488000 00084656
	s_setvskip 0, 0                                            // 00000000D0E8: BF108080
	s_setvskip s20, 3                                          // 00000000D0EC: BF108314
	global_atomic_pk_add_bf16 v86, v71, s[8:9] offset:256      // 00000000D0F0: DD488100 00084756
	s_setvskip 0, 0                                            // 00000000D0F8: BF108080
	s_setvskip s20, 4                                          // 00000000D0FC: BF108414
	global_atomic_pk_add_bf16 v88, v72, s[8:9]                 // 00000000D100: DD488000 00084858
	s_setvskip 0, 0                                            // 00000000D108: BF108080
	s_setvskip s20, 4                                          // 00000000D10C: BF108414
	global_atomic_pk_add_bf16 v88, v73, s[8:9] offset:256      // 00000000D110: DD488100 00084958
	s_setvskip 0, 0                                            // 00000000D118: BF108080
	s_setvskip s20, 5                                          // 00000000D11C: BF108514
	global_atomic_pk_add_bf16 v90, v74, s[8:9]                 // 00000000D120: DD488000 00084A5A
	s_setvskip 0, 0                                            // 00000000D128: BF108080
	s_setvskip s20, 5                                          // 00000000D12C: BF108514
	global_atomic_pk_add_bf16 v90, v75, s[8:9] offset:256      // 00000000D130: DD488100 00084B5A
	s_setvskip 0, 0                                            // 00000000D138: BF108080
	s_setvskip s20, 6                                          // 00000000D13C: BF108614
	global_atomic_pk_add_bf16 v92, v76, s[8:9]                 // 00000000D140: DD488000 00084C5C
	s_setvskip 0, 0                                            // 00000000D148: BF108080
	s_setvskip s20, 6                                          // 00000000D14C: BF108614
	global_atomic_pk_add_bf16 v92, v77, s[8:9] offset:256      // 00000000D150: DD488100 00084D5C
	s_setvskip 0, 0                                            // 00000000D158: BF108080
	s_setvskip s20, 7                                          // 00000000D15C: BF108714
	global_atomic_pk_add_bf16 v94, v78, s[8:9]                 // 00000000D160: DD488000 00084E5E
	s_setvskip 0, 0                                            // 00000000D168: BF108080
	s_setvskip s20, 7                                          // 00000000D16C: BF108714
	global_atomic_pk_add_bf16 v94, v79, s[8:9] offset:256      // 00000000D170: DD488100 00084F5E
	s_setvskip 0, 0                                            // 00000000D178: BF108080
	s_add_u32 s8, s59, s8                                      // 00000000D17C: 8008083B
	s_addc_u32 s9, 0, s9                                       // 00000000D180: 82090980
	ds_write_b64 v3, v[200:201] offset:19456                   // 00000000D184: D89A4C00 0000C803
	ds_write_b64 v3, v[202:203] offset:28160                   // 00000000D18C: D89A6E00 0000CA03
	ds_write_b64 v3, v[204:205] offset:21632                   // 00000000D194: D89A5480 0000CC03
	ds_write_b64 v3, v[206:207] offset:30336                   // 00000000D19C: D89A7680 0000CE03
	ds_write_b64 v3, v[208:209] offset:23808                   // 00000000D1A4: D89A5D00 0000D003
	ds_write_b64 v3, v[210:211] offset:32512                   // 00000000D1AC: D89A7F00 0000D203
	ds_write_b64 v3, v[212:213] offset:25984                   // 00000000D1B4: D89A6580 0000D403
	ds_write_b64 v3, v[214:215] offset:34688                   // 00000000D1BC: D89A8780 0000D603
	s_waitcnt lgkmcnt(0)                                       // 00000000D1C4: BF8CC07F
	s_barrier                                                  // 00000000D1C8: BF8A0000
	ds_read_b32 v64, v4 offset:19456                           // 00000000D1CC: D86C4C00 40000004
	ds_read_b32 v65, v4 offset:23808                           // 00000000D1D4: D86C5D00 41000004
	ds_read_b32 v66, v4 offset:19488                           // 00000000D1DC: D86C4C20 42000004
	ds_read_b32 v67, v4 offset:23840                           // 00000000D1E4: D86C5D20 43000004
	ds_read_b32 v68, v4 offset:19520                           // 00000000D1EC: D86C4C40 44000004
	ds_read_b32 v69, v4 offset:23872                           // 00000000D1F4: D86C5D40 45000004
	ds_read_b32 v70, v4 offset:19552                           // 00000000D1FC: D86C4C60 46000004
	ds_read_b32 v71, v4 offset:23904                           // 00000000D204: D86C5D60 47000004
	ds_read_b32 v72, v4 offset:28160                           // 00000000D20C: D86C6E00 48000004
	ds_read_b32 v73, v4 offset:32512                           // 00000000D214: D86C7F00 49000004
	ds_read_b32 v74, v4 offset:28192                           // 00000000D21C: D86C6E20 4A000004
	ds_read_b32 v75, v4 offset:32544                           // 00000000D224: D86C7F20 4B000004
	ds_read_b32 v76, v4 offset:28224                           // 00000000D22C: D86C6E40 4C000004
	ds_read_b32 v77, v4 offset:32576                           // 00000000D234: D86C7F40 4D000004
	ds_read_b32 v78, v4 offset:28256                           // 00000000D23C: D86C6E60 4E000004
	ds_read_b32 v79, v4 offset:32608                           // 00000000D244: D86C7F60 4F000004
	s_waitcnt lgkmcnt(0)                                       // 00000000D24C: BF8CC07F
	s_setvskip s20, 0                                          // 00000000D250: BF108014
	global_atomic_pk_add_bf16 v80, v64, s[8:9]                 // 00000000D254: DD488000 00084050
	s_setvskip 0, 0                                            // 00000000D25C: BF108080
	s_setvskip s20, 0                                          // 00000000D260: BF108014
	global_atomic_pk_add_bf16 v80, v65, s[8:9] offset:256      // 00000000D264: DD488100 00084150
	s_setvskip 0, 0                                            // 00000000D26C: BF108080
	s_setvskip s20, 1                                          // 00000000D270: BF108114
	global_atomic_pk_add_bf16 v82, v66, s[8:9]                 // 00000000D274: DD488000 00084252
	s_setvskip 0, 0                                            // 00000000D27C: BF108080
	s_setvskip s20, 1                                          // 00000000D280: BF108114
	global_atomic_pk_add_bf16 v82, v67, s[8:9] offset:256      // 00000000D284: DD488100 00084352
	s_setvskip 0, 0                                            // 00000000D28C: BF108080
	s_setvskip s20, 2                                          // 00000000D290: BF108214
	global_atomic_pk_add_bf16 v84, v68, s[8:9]                 // 00000000D294: DD488000 00084454
	s_setvskip 0, 0                                            // 00000000D29C: BF108080
	s_setvskip s20, 2                                          // 00000000D2A0: BF108214
	global_atomic_pk_add_bf16 v84, v69, s[8:9] offset:256      // 00000000D2A4: DD488100 00084554
	s_setvskip 0, 0                                            // 00000000D2AC: BF108080
	s_setvskip s20, 3                                          // 00000000D2B0: BF108314
	global_atomic_pk_add_bf16 v86, v70, s[8:9]                 // 00000000D2B4: DD488000 00084656
	s_setvskip 0, 0                                            // 00000000D2BC: BF108080
	s_setvskip s20, 3                                          // 00000000D2C0: BF108314
	global_atomic_pk_add_bf16 v86, v71, s[8:9] offset:256      // 00000000D2C4: DD488100 00084756
	s_setvskip 0, 0                                            // 00000000D2CC: BF108080
	s_setvskip s20, 4                                          // 00000000D2D0: BF108414
	global_atomic_pk_add_bf16 v88, v72, s[8:9]                 // 00000000D2D4: DD488000 00084858
	s_setvskip 0, 0                                            // 00000000D2DC: BF108080
	s_setvskip s20, 4                                          // 00000000D2E0: BF108414
	global_atomic_pk_add_bf16 v88, v73, s[8:9] offset:256      // 00000000D2E4: DD488100 00084958
	s_setvskip 0, 0                                            // 00000000D2EC: BF108080
	s_setvskip s20, 5                                          // 00000000D2F0: BF108514
	global_atomic_pk_add_bf16 v90, v74, s[8:9]                 // 00000000D2F4: DD488000 00084A5A
	s_setvskip 0, 0                                            // 00000000D2FC: BF108080
	s_setvskip s20, 5                                          // 00000000D300: BF108514
	global_atomic_pk_add_bf16 v90, v75, s[8:9] offset:256      // 00000000D304: DD488100 00084B5A
	s_setvskip 0, 0                                            // 00000000D30C: BF108080
	s_setvskip s20, 6                                          // 00000000D310: BF108614
	global_atomic_pk_add_bf16 v92, v76, s[8:9]                 // 00000000D314: DD488000 00084C5C
	s_setvskip 0, 0                                            // 00000000D31C: BF108080
	s_setvskip s20, 6                                          // 00000000D320: BF108614
	global_atomic_pk_add_bf16 v92, v77, s[8:9] offset:256      // 00000000D324: DD488100 00084D5C
	s_setvskip 0, 0                                            // 00000000D32C: BF108080
	s_setvskip s20, 7                                          // 00000000D330: BF108714
	global_atomic_pk_add_bf16 v94, v78, s[8:9]                 // 00000000D334: DD488000 00084E5E
	s_setvskip 0, 0                                            // 00000000D33C: BF108080
	s_setvskip s20, 7                                          // 00000000D340: BF108714
	global_atomic_pk_add_bf16 v94, v79, s[8:9] offset:256      // 00000000D344: DD488100 00084F5E
	s_setvskip 0, 0                                            // 00000000D34C: BF108080

000000000000d350 <label_2A14>:
	s_waitcnt vmcnt(0) expcnt(0) lgkmcnt(0)                    // 00000000D350: BF8C0000
	s_endpgm                                                   // 00000000D354: BF810000
